;; amdgpu-corpus repo=ROCm/rocFFT kind=compiled arch=gfx906 opt=O3
	.text
	.amdgcn_target "amdgcn-amd-amdhsa--gfx906"
	.amdhsa_code_object_version 6
	.protected	fft_rtc_fwd_len1326_factors_17_6_13_wgs_204_tpt_102_halfLds_half_ip_CI_unitstride_sbrr_C2R_dirReg ; -- Begin function fft_rtc_fwd_len1326_factors_17_6_13_wgs_204_tpt_102_halfLds_half_ip_CI_unitstride_sbrr_C2R_dirReg
	.globl	fft_rtc_fwd_len1326_factors_17_6_13_wgs_204_tpt_102_halfLds_half_ip_CI_unitstride_sbrr_C2R_dirReg
	.p2align	8
	.type	fft_rtc_fwd_len1326_factors_17_6_13_wgs_204_tpt_102_halfLds_half_ip_CI_unitstride_sbrr_C2R_dirReg,@function
fft_rtc_fwd_len1326_factors_17_6_13_wgs_204_tpt_102_halfLds_half_ip_CI_unitstride_sbrr_C2R_dirReg: ; @fft_rtc_fwd_len1326_factors_17_6_13_wgs_204_tpt_102_halfLds_half_ip_CI_unitstride_sbrr_C2R_dirReg
; %bb.0:
	s_load_dwordx2 s[2:3], s[4:5], 0x50
	s_load_dwordx4 s[8:11], s[4:5], 0x0
	s_load_dwordx2 s[12:13], s[4:5], 0x18
	v_mul_u32_u24_e32 v1, 0x283, v0
	v_lshrrev_b32_e32 v9, 16, v1
	v_mov_b32_e32 v3, 0
	s_waitcnt lgkmcnt(0)
	v_cmp_lt_u64_e64 s[0:1], s[10:11], 2
	v_mov_b32_e32 v1, 0
	v_lshl_add_u32 v5, s6, 1, v9
	v_mov_b32_e32 v6, v3
	s_and_b64 vcc, exec, s[0:1]
	v_mov_b32_e32 v2, 0
	s_cbranch_vccnz .LBB0_8
; %bb.1:
	s_load_dwordx2 s[0:1], s[4:5], 0x10
	s_add_u32 s6, s12, 8
	s_addc_u32 s7, s13, 0
	v_mov_b32_e32 v1, 0
	v_mov_b32_e32 v2, 0
	s_waitcnt lgkmcnt(0)
	s_add_u32 s14, s0, 8
	s_addc_u32 s15, s1, 0
	s_mov_b64 s[16:17], 1
.LBB0_2:                                ; =>This Inner Loop Header: Depth=1
	s_load_dwordx2 s[18:19], s[14:15], 0x0
                                        ; implicit-def: $vgpr7_vgpr8
	s_waitcnt lgkmcnt(0)
	v_or_b32_e32 v4, s19, v6
	v_cmp_ne_u64_e32 vcc, 0, v[3:4]
	s_and_saveexec_b64 s[0:1], vcc
	s_xor_b64 s[20:21], exec, s[0:1]
	s_cbranch_execz .LBB0_4
; %bb.3:                                ;   in Loop: Header=BB0_2 Depth=1
	v_cvt_f32_u32_e32 v4, s18
	v_cvt_f32_u32_e32 v7, s19
	s_sub_u32 s0, 0, s18
	s_subb_u32 s1, 0, s19
	v_mac_f32_e32 v4, 0x4f800000, v7
	v_rcp_f32_e32 v4, v4
	v_mul_f32_e32 v4, 0x5f7ffffc, v4
	v_mul_f32_e32 v7, 0x2f800000, v4
	v_trunc_f32_e32 v7, v7
	v_mac_f32_e32 v4, 0xcf800000, v7
	v_cvt_u32_f32_e32 v7, v7
	v_cvt_u32_f32_e32 v4, v4
	v_mul_lo_u32 v8, s0, v7
	v_mul_hi_u32 v10, s0, v4
	v_mul_lo_u32 v12, s1, v4
	v_mul_lo_u32 v11, s0, v4
	v_add_u32_e32 v8, v10, v8
	v_add_u32_e32 v8, v8, v12
	v_mul_hi_u32 v10, v4, v11
	v_mul_lo_u32 v12, v4, v8
	v_mul_hi_u32 v14, v4, v8
	v_mul_hi_u32 v13, v7, v11
	v_mul_lo_u32 v11, v7, v11
	v_mul_hi_u32 v15, v7, v8
	v_add_co_u32_e32 v10, vcc, v10, v12
	v_addc_co_u32_e32 v12, vcc, 0, v14, vcc
	v_mul_lo_u32 v8, v7, v8
	v_add_co_u32_e32 v10, vcc, v10, v11
	v_addc_co_u32_e32 v10, vcc, v12, v13, vcc
	v_addc_co_u32_e32 v11, vcc, 0, v15, vcc
	v_add_co_u32_e32 v8, vcc, v10, v8
	v_addc_co_u32_e32 v10, vcc, 0, v11, vcc
	v_add_co_u32_e32 v4, vcc, v4, v8
	v_addc_co_u32_e32 v7, vcc, v7, v10, vcc
	v_mul_lo_u32 v8, s0, v7
	v_mul_hi_u32 v10, s0, v4
	v_mul_lo_u32 v11, s1, v4
	v_mul_lo_u32 v12, s0, v4
	v_add_u32_e32 v8, v10, v8
	v_add_u32_e32 v8, v8, v11
	v_mul_lo_u32 v13, v4, v8
	v_mul_hi_u32 v14, v4, v12
	v_mul_hi_u32 v15, v4, v8
	;; [unrolled: 1-line block ×3, first 2 shown]
	v_mul_lo_u32 v12, v7, v12
	v_mul_hi_u32 v10, v7, v8
	v_add_co_u32_e32 v13, vcc, v14, v13
	v_addc_co_u32_e32 v14, vcc, 0, v15, vcc
	v_mul_lo_u32 v8, v7, v8
	v_add_co_u32_e32 v12, vcc, v13, v12
	v_addc_co_u32_e32 v11, vcc, v14, v11, vcc
	v_addc_co_u32_e32 v10, vcc, 0, v10, vcc
	v_add_co_u32_e32 v8, vcc, v11, v8
	v_addc_co_u32_e32 v10, vcc, 0, v10, vcc
	v_add_co_u32_e32 v4, vcc, v4, v8
	v_addc_co_u32_e32 v10, vcc, v7, v10, vcc
	v_mad_u64_u32 v[7:8], s[0:1], v5, v10, 0
	v_mul_hi_u32 v11, v5, v4
	v_add_co_u32_e32 v12, vcc, v11, v7
	v_addc_co_u32_e32 v13, vcc, 0, v8, vcc
	v_mad_u64_u32 v[7:8], s[0:1], v6, v4, 0
	v_mad_u64_u32 v[10:11], s[0:1], v6, v10, 0
	v_add_co_u32_e32 v4, vcc, v12, v7
	v_addc_co_u32_e32 v4, vcc, v13, v8, vcc
	v_addc_co_u32_e32 v7, vcc, 0, v11, vcc
	v_add_co_u32_e32 v4, vcc, v4, v10
	v_addc_co_u32_e32 v10, vcc, 0, v7, vcc
	v_mul_lo_u32 v11, s19, v4
	v_mul_lo_u32 v12, s18, v10
	v_mad_u64_u32 v[7:8], s[0:1], s18, v4, 0
	v_add3_u32 v8, v8, v12, v11
	v_sub_u32_e32 v11, v6, v8
	v_mov_b32_e32 v12, s19
	v_sub_co_u32_e32 v7, vcc, v5, v7
	v_subb_co_u32_e64 v11, s[0:1], v11, v12, vcc
	v_subrev_co_u32_e64 v12, s[0:1], s18, v7
	v_subbrev_co_u32_e64 v11, s[0:1], 0, v11, s[0:1]
	v_cmp_le_u32_e64 s[0:1], s19, v11
	v_cndmask_b32_e64 v13, 0, -1, s[0:1]
	v_cmp_le_u32_e64 s[0:1], s18, v12
	v_cndmask_b32_e64 v12, 0, -1, s[0:1]
	v_cmp_eq_u32_e64 s[0:1], s19, v11
	v_cndmask_b32_e64 v11, v13, v12, s[0:1]
	v_add_co_u32_e64 v12, s[0:1], 2, v4
	v_addc_co_u32_e64 v13, s[0:1], 0, v10, s[0:1]
	v_add_co_u32_e64 v14, s[0:1], 1, v4
	v_addc_co_u32_e64 v15, s[0:1], 0, v10, s[0:1]
	v_subb_co_u32_e32 v8, vcc, v6, v8, vcc
	v_cmp_ne_u32_e64 s[0:1], 0, v11
	v_cmp_le_u32_e32 vcc, s19, v8
	v_cndmask_b32_e64 v11, v15, v13, s[0:1]
	v_cndmask_b32_e64 v13, 0, -1, vcc
	v_cmp_le_u32_e32 vcc, s18, v7
	v_cndmask_b32_e64 v7, 0, -1, vcc
	v_cmp_eq_u32_e32 vcc, s19, v8
	v_cndmask_b32_e32 v7, v13, v7, vcc
	v_cmp_ne_u32_e32 vcc, 0, v7
	v_cndmask_b32_e64 v7, v14, v12, s[0:1]
	v_cndmask_b32_e32 v8, v10, v11, vcc
	v_cndmask_b32_e32 v7, v4, v7, vcc
.LBB0_4:                                ;   in Loop: Header=BB0_2 Depth=1
	s_andn2_saveexec_b64 s[0:1], s[20:21]
	s_cbranch_execz .LBB0_6
; %bb.5:                                ;   in Loop: Header=BB0_2 Depth=1
	v_cvt_f32_u32_e32 v4, s18
	s_sub_i32 s20, 0, s18
	v_rcp_iflag_f32_e32 v4, v4
	v_mul_f32_e32 v4, 0x4f7ffffe, v4
	v_cvt_u32_f32_e32 v4, v4
	v_mul_lo_u32 v7, s20, v4
	v_mul_hi_u32 v7, v4, v7
	v_add_u32_e32 v4, v4, v7
	v_mul_hi_u32 v4, v5, v4
	v_mul_lo_u32 v7, v4, s18
	v_add_u32_e32 v8, 1, v4
	v_sub_u32_e32 v7, v5, v7
	v_subrev_u32_e32 v10, s18, v7
	v_cmp_le_u32_e32 vcc, s18, v7
	v_cndmask_b32_e32 v7, v7, v10, vcc
	v_cndmask_b32_e32 v4, v4, v8, vcc
	v_add_u32_e32 v8, 1, v4
	v_cmp_le_u32_e32 vcc, s18, v7
	v_cndmask_b32_e32 v7, v4, v8, vcc
	v_mov_b32_e32 v8, v3
.LBB0_6:                                ;   in Loop: Header=BB0_2 Depth=1
	s_or_b64 exec, exec, s[0:1]
	v_mul_lo_u32 v4, v8, s18
	v_mul_lo_u32 v12, v7, s19
	v_mad_u64_u32 v[10:11], s[0:1], v7, s18, 0
	s_load_dwordx2 s[0:1], s[6:7], 0x0
	s_add_u32 s16, s16, 1
	v_add3_u32 v4, v11, v12, v4
	v_sub_co_u32_e32 v5, vcc, v5, v10
	v_subb_co_u32_e32 v4, vcc, v6, v4, vcc
	s_waitcnt lgkmcnt(0)
	v_mul_lo_u32 v4, s0, v4
	v_mul_lo_u32 v6, s1, v5
	v_mad_u64_u32 v[1:2], s[0:1], s0, v5, v[1:2]
	s_addc_u32 s17, s17, 0
	s_add_u32 s6, s6, 8
	v_add3_u32 v2, v6, v2, v4
	v_mov_b32_e32 v4, s10
	v_mov_b32_e32 v5, s11
	s_addc_u32 s7, s7, 0
	v_cmp_ge_u64_e32 vcc, s[16:17], v[4:5]
	s_add_u32 s14, s14, 8
	s_addc_u32 s15, s15, 0
	s_cbranch_vccnz .LBB0_9
; %bb.7:                                ;   in Loop: Header=BB0_2 Depth=1
	v_mov_b32_e32 v5, v7
	v_mov_b32_e32 v6, v8
	s_branch .LBB0_2
.LBB0_8:
	v_mov_b32_e32 v8, v6
	v_mov_b32_e32 v7, v5
.LBB0_9:
	s_lshl_b64 s[0:1], s[10:11], 3
	s_add_u32 s0, s12, s0
	s_addc_u32 s1, s13, s1
	s_load_dwordx2 s[6:7], s[0:1], 0x0
	s_load_dwordx2 s[10:11], s[4:5], 0x20
	v_and_b32_e32 v5, 1, v9
	v_mov_b32_e32 v6, 0x52f
	v_cmp_eq_u32_e32 vcc, 1, v5
	s_waitcnt lgkmcnt(0)
	v_mul_lo_u32 v3, s6, v8
	v_mul_lo_u32 v4, s7, v7
	v_mad_u64_u32 v[1:2], s[0:1], s6, v7, v[1:2]
	s_mov_b32 s0, 0x2828283
	v_cndmask_b32_e32 v6, 0, v6, vcc
	v_add3_u32 v2, v4, v2, v3
	v_mul_hi_u32 v3, v0, s0
	v_cmp_gt_u64_e64 s[0:1], s[10:11], v[7:8]
	v_lshlrev_b32_e32 v27, 2, v6
	v_mul_u32_u24_e32 v3, 0x66, v3
	v_sub_u32_e32 v0, v0, v3
	v_lshlrev_b64 v[2:3], 2, v[1:2]
	s_and_saveexec_b64 s[4:5], s[0:1]
	s_cbranch_execz .LBB0_13
; %bb.10:
	v_mov_b32_e32 v1, 0
	v_mov_b32_e32 v4, s3
	v_add_co_u32_e32 v5, vcc, s2, v2
	v_lshlrev_b64 v[7:8], 2, v[0:1]
	v_addc_co_u32_e32 v4, vcc, v4, v3, vcc
	v_add_co_u32_e32 v7, vcc, v5, v7
	v_addc_co_u32_e32 v8, vcc, v4, v8, vcc
	v_add_co_u32_e32 v9, vcc, 0x1000, v7
	global_load_dword v11, v[7:8], off
	global_load_dword v12, v[7:8], off offset:1224
	global_load_dword v13, v[7:8], off offset:1632
	;; [unrolled: 1-line block ×7, first 2 shown]
	v_addc_co_u32_e32 v10, vcc, 0, v8, vcc
	global_load_dword v19, v[7:8], off offset:3264
	global_load_dword v20, v[7:8], off offset:3672
	;; [unrolled: 1-line block ×5, first 2 shown]
	v_lshlrev_b32_e32 v1, 2, v0
	s_movk_i32 s6, 0x65
	v_add3_u32 v1, 0, v27, v1
	v_add_u32_e32 v7, 0x200, v1
	v_cmp_eq_u32_e32 vcc, s6, v0
	v_add_u32_e32 v8, 0x400, v1
	v_add_u32_e32 v9, 0x800, v1
	;; [unrolled: 1-line block ×4, first 2 shown]
	s_waitcnt vmcnt(6)
	ds_write2_b32 v7, v17, v12 offset0:76 offset1:178
	ds_write2_b32 v8, v13, v14 offset0:152 offset1:254
	s_waitcnt vmcnt(5)
	ds_write2_b32 v1, v11, v18 offset1:102
	ds_write2_b32 v9, v15, v16 offset0:100 offset1:202
	s_waitcnt vmcnt(3)
	ds_write2_b32 v10, v19, v20 offset0:48 offset1:150
	s_waitcnt vmcnt(1)
	;; [unrolled: 2-line block ×3, first 2 shown]
	ds_write_b32 v1, v23 offset:4896
	s_and_saveexec_b64 s[6:7], vcc
	s_cbranch_execz .LBB0_12
; %bb.11:
	v_add_co_u32_e32 v7, vcc, 0x1000, v5
	v_addc_co_u32_e32 v8, vcc, 0, v4, vcc
	global_load_dword v0, v[7:8], off offset:1208
	s_waitcnt vmcnt(0)
	ds_write_b32 v1, v0 offset:4900
	v_mov_b32_e32 v0, 0x65
.LBB0_12:
	s_or_b64 exec, exec, s[6:7]
.LBB0_13:
	s_or_b64 exec, exec, s[4:5]
	v_lshl_add_u32 v25, v6, 2, 0
	v_lshlrev_b32_e32 v1, 2, v0
	v_add_u32_e32 v26, v25, v1
	s_waitcnt lgkmcnt(0)
	s_barrier
	v_sub_u32_e32 v7, v25, v1
	ds_read_u16 v10, v26
	ds_read_u16 v11, v7 offset:5304
	s_add_u32 s6, s8, 0x1474
	s_addc_u32 s7, s9, 0
	v_cmp_ne_u32_e32 vcc, 0, v0
                                        ; implicit-def: $vgpr4_vgpr5
	s_waitcnt lgkmcnt(0)
	v_add_f16_e32 v8, v11, v10
	v_sub_f16_e32 v9, v10, v11
	s_and_saveexec_b64 s[4:5], vcc
	s_xor_b64 s[4:5], exec, s[4:5]
	s_cbranch_execz .LBB0_15
; %bb.14:
	v_mov_b32_e32 v1, 0
	v_lshlrev_b64 v[4:5], 2, v[0:1]
	v_mov_b32_e32 v8, s7
	v_add_co_u32_e32 v4, vcc, s6, v4
	v_addc_co_u32_e32 v5, vcc, v8, v5, vcc
	global_load_dword v4, v[4:5], off
	ds_read_u16 v5, v7 offset:5306
	ds_read_u16 v8, v26 offset:2
	v_add_f16_e32 v9, v11, v10
	v_sub_f16_e32 v10, v10, v11
	s_waitcnt lgkmcnt(0)
	v_add_f16_e32 v11, v5, v8
	v_sub_f16_e32 v5, v8, v5
	s_waitcnt vmcnt(0)
	v_lshrrev_b32_e32 v8, 16, v4
	v_fma_f16 v12, v10, v8, v9
	v_fma_f16 v13, v11, v8, v5
	v_fma_f16 v14, -v10, v8, v9
	v_fma_f16 v5, v11, v8, -v5
	v_fma_f16 v8, -v4, v11, v12
	v_fma_f16 v9, v10, v4, v13
	v_fma_f16 v11, v4, v11, v14
	;; [unrolled: 1-line block ×3, first 2 shown]
	v_pack_b32_f16 v4, v11, v4
	ds_write_b32 v7, v4 offset:5304
	v_mov_b32_e32 v5, v1
	v_mov_b32_e32 v4, v0
.LBB0_15:
	s_andn2_saveexec_b64 s[4:5], s[4:5]
	s_cbranch_execz .LBB0_17
; %bb.16:
	ds_read_b32 v1, v25 offset:2652
	s_mov_b32 s10, 0xc0004000
	v_mov_b32_e32 v4, 0
	v_mov_b32_e32 v5, 0
	s_waitcnt lgkmcnt(0)
	v_pk_mul_f16 v1, v1, s10
	ds_write_b32 v25, v1 offset:2652
.LBB0_17:
	s_or_b64 exec, exec, s[4:5]
	v_lshlrev_b64 v[4:5], 2, v[4:5]
	v_mov_b32_e32 v1, s7
	v_add_co_u32_e32 v4, vcc, s6, v4
	v_addc_co_u32_e32 v5, vcc, v1, v5, vcc
	global_load_dword v1, v[4:5], off offset:408
	global_load_dword v10, v[4:5], off offset:816
	;; [unrolled: 1-line block ×4, first 2 shown]
	s_mov_b32 s4, 0x5040100
	v_perm_b32 v8, v9, v8, s4
	ds_write_b32 v26, v8
	ds_read_b32 v8, v26 offset:408
	ds_read_b32 v9, v7 offset:4896
	global_load_dword v13, v[4:5], off offset:2040
	v_cmp_gt_u32_e32 vcc, 51, v0
	s_waitcnt lgkmcnt(0)
	v_add_f16_e32 v14, v8, v9
	v_add_f16_sdwa v15, v9, v8 dst_sel:DWORD dst_unused:UNUSED_PAD src0_sel:WORD_1 src1_sel:WORD_1
	v_sub_f16_e32 v16, v8, v9
	v_sub_f16_sdwa v8, v8, v9 dst_sel:DWORD dst_unused:UNUSED_PAD src0_sel:WORD_1 src1_sel:WORD_1
	s_waitcnt vmcnt(4)
	v_lshrrev_b32_e32 v9, 16, v1
	v_fma_f16 v17, v16, v9, v14
	v_fma_f16 v18, v15, v9, v8
	v_fma_f16 v14, -v16, v9, v14
	v_fma_f16 v8, v15, v9, -v8
	v_fma_f16 v9, -v1, v15, v17
	v_fma_f16 v17, v16, v1, v18
	v_fma_f16 v14, v1, v15, v14
	v_fma_f16 v1, v16, v1, v8
	v_pack_b32_f16 v8, v9, v17
	v_pack_b32_f16 v1, v14, v1
	ds_write_b32 v26, v8 offset:408
	ds_write_b32 v7, v1 offset:4896
	ds_read_b32 v1, v26 offset:816
	ds_read_b32 v8, v7 offset:4488
	s_waitcnt vmcnt(3)
	v_lshrrev_b32_e32 v9, 16, v10
	s_waitcnt lgkmcnt(0)
	v_add_f16_e32 v14, v1, v8
	v_add_f16_sdwa v15, v8, v1 dst_sel:DWORD dst_unused:UNUSED_PAD src0_sel:WORD_1 src1_sel:WORD_1
	v_sub_f16_e32 v16, v1, v8
	v_sub_f16_sdwa v1, v1, v8 dst_sel:DWORD dst_unused:UNUSED_PAD src0_sel:WORD_1 src1_sel:WORD_1
	v_fma_f16 v8, v16, v9, v14
	v_fma_f16 v17, v15, v9, v1
	v_fma_f16 v14, -v16, v9, v14
	v_fma_f16 v1, v15, v9, -v1
	v_fma_f16 v8, -v10, v15, v8
	v_fma_f16 v9, v16, v10, v17
	v_fma_f16 v14, v10, v15, v14
	v_fma_f16 v1, v16, v10, v1
	v_pack_b32_f16 v8, v8, v9
	v_pack_b32_f16 v1, v14, v1
	ds_write_b32 v26, v8 offset:816
	ds_write_b32 v7, v1 offset:4488
	ds_read_b32 v1, v26 offset:1224
	ds_read_b32 v8, v7 offset:4080
	s_waitcnt vmcnt(2)
	v_lshrrev_b32_e32 v9, 16, v11
	s_waitcnt lgkmcnt(0)
	v_add_f16_e32 v10, v1, v8
	v_add_f16_sdwa v14, v8, v1 dst_sel:DWORD dst_unused:UNUSED_PAD src0_sel:WORD_1 src1_sel:WORD_1
	v_sub_f16_e32 v15, v1, v8
	v_sub_f16_sdwa v1, v1, v8 dst_sel:DWORD dst_unused:UNUSED_PAD src0_sel:WORD_1 src1_sel:WORD_1
	;; [unrolled: 21-line block ×4, first 2 shown]
	v_fma_f16 v8, v12, v9, v10
	v_fma_f16 v14, v11, v9, v1
	v_fma_f16 v10, -v12, v9, v10
	v_fma_f16 v1, v11, v9, -v1
	v_fma_f16 v8, -v13, v11, v8
	v_fma_f16 v9, v12, v13, v14
	v_fma_f16 v10, v13, v11, v10
	;; [unrolled: 1-line block ×3, first 2 shown]
	v_pack_b32_f16 v8, v8, v9
	v_pack_b32_f16 v1, v10, v1
	ds_write_b32 v26, v8 offset:2040
	ds_write_b32 v7, v1 offset:3264
	s_and_saveexec_b64 s[4:5], vcc
	s_cbranch_execz .LBB0_19
; %bb.18:
	global_load_dword v1, v[4:5], off offset:2448
	ds_read_b32 v4, v26 offset:2448
	ds_read_b32 v5, v7 offset:2856
	s_waitcnt lgkmcnt(0)
	v_add_f16_e32 v8, v4, v5
	v_add_f16_sdwa v9, v5, v4 dst_sel:DWORD dst_unused:UNUSED_PAD src0_sel:WORD_1 src1_sel:WORD_1
	v_sub_f16_e32 v10, v4, v5
	v_sub_f16_sdwa v4, v4, v5 dst_sel:DWORD dst_unused:UNUSED_PAD src0_sel:WORD_1 src1_sel:WORD_1
	s_waitcnt vmcnt(0)
	v_lshrrev_b32_e32 v5, 16, v1
	v_fma_f16 v11, v10, v5, v8
	v_fma_f16 v12, v9, v5, v4
	v_fma_f16 v8, -v10, v5, v8
	v_fma_f16 v4, v9, v5, -v4
	v_fma_f16 v5, -v1, v9, v11
	v_fma_f16 v11, v10, v1, v12
	v_fma_f16 v8, v1, v9, v8
	;; [unrolled: 1-line block ×3, first 2 shown]
	v_pack_b32_f16 v4, v5, v11
	v_pack_b32_f16 v1, v8, v1
	ds_write_b32 v26, v4 offset:2448
	ds_write_b32 v7, v1 offset:2856
.LBB0_19:
	s_or_b64 exec, exec, s[4:5]
	v_lshl_add_u32 v33, v0, 2, 0
	v_lshl_add_u32 v1, v6, 2, v33
	s_waitcnt lgkmcnt(0)
	s_barrier
	s_barrier
	ds_read2_b32 v[11:12], v1 offset0:78 offset1:156
	v_add_u32_e32 v4, 0x1000, v1
	ds_read2_b32 v[8:9], v4 offset0:146 offset1:224
	ds_read_b32 v38, v26
	s_mov_b32 s23, 0xbbf7
	s_movk_i32 s7, 0x2de8
	s_mov_b32 s11, 0xb1e1
	s_waitcnt lgkmcnt(1)
	v_pk_add_f16 v28, v11, v9 neg_lo:[0,1] neg_hi:[0,1]
	v_pk_add_f16 v30, v9, v11
	v_mul_f16_sdwa v51, v28, s23 dst_sel:DWORD dst_unused:UNUSED_PAD src0_sel:WORD_1 src1_sel:DWORD
	v_pk_add_f16 v35, v12, v8 neg_lo:[0,1] neg_hi:[0,1]
	v_fma_f16 v4, v30, s7, v51
	v_pk_add_f16 v37, v8, v12
	s_mov_b32 s12, 0xbbdd
	v_mul_f16_sdwa v55, v35, s11 dst_sel:DWORD dst_unused:UNUSED_PAD src0_sel:WORD_1 src1_sel:DWORD
	s_waitcnt lgkmcnt(0)
	v_add_f16_e32 v4, v38, v4
	v_fma_f16 v6, v37, s12, v55
	v_add_f16_e32 v4, v6, v4
	v_add_u32_e32 v6, 0x200, v1
	v_add_u32_e32 v36, 0xe00, v1
	ds_read2_b32 v[19:20], v6 offset0:106 offset1:184
	ds_read2_b32 v[13:14], v36 offset0:118 offset1:196
	s_mov_b32 s6, 0xbbb2
	s_mov_b32 s10, 0xb461
	v_mul_f16_sdwa v56, v28, s6 dst_sel:DWORD dst_unused:UNUSED_PAD src0_sel:WORD_1 src1_sel:DWORD
	s_movk_i32 s4, 0x3836
	v_fma_f16 v5, v30, s10, v56
	s_mov_b32 s13, 0xbacd
	v_mul_f16_sdwa v59, v35, s4 dst_sel:DWORD dst_unused:UNUSED_PAD src0_sel:WORD_1 src1_sel:DWORD
	s_movk_i32 s24, 0x3bb2
	s_waitcnt lgkmcnt(0)
	v_pk_add_f16 v40, v19, v14 neg_lo:[0,1] neg_hi:[0,1]
	v_add_f16_e32 v5, v38, v5
	v_fma_f16 v6, v37, s13, v59
	v_pk_add_f16 v42, v14, v19
	v_mul_f16_sdwa v58, v40, s24 dst_sel:DWORD dst_unused:UNUSED_PAD src0_sel:WORD_1 src1_sel:DWORD
	s_movk_i32 s14, 0x3964
	v_add_f16_e32 v5, v6, v5
	v_fma_f16 v6, v42, s10, v58
	s_movk_i32 s15, 0x39e9
	v_mul_f16_sdwa v61, v40, s14 dst_sel:DWORD dst_unused:UNUSED_PAD src0_sel:WORD_1 src1_sel:DWORD
	s_movk_i32 s17, 0x35c8
	v_pk_add_f16 v43, v20, v13 neg_lo:[0,1] neg_hi:[0,1]
	v_add_f16_e32 v4, v6, v4
	v_fma_f16 v6, v42, s15, v61
	s_movk_i32 s16, 0x3b76
	v_pk_add_f16 v44, v13, v20
	v_mul_f16_sdwa v60, v43, s17 dst_sel:DWORD dst_unused:UNUSED_PAD src0_sel:WORD_1 src1_sel:DWORD
	v_add_f16_e32 v5, v6, v5
	v_fma_f16 v6, v44, s16, v60
	v_add_f16_e32 v4, v6, v4
	v_add_u32_e32 v6, 0xc00, v1
	v_add_u32_e32 v41, 0x400, v1
	ds_read2_b32 v[15:16], v6 offset0:90 offset1:168
	ds_read2_b32 v[17:18], v41 offset0:134 offset1:212
	v_add_u32_e32 v49, 0x800, v1
	s_mov_b32 s4, 0xbb29
	v_add_u32_e32 v48, 0xa00, v1
	ds_read2_b32 v[23:24], v49 offset0:34 offset1:112
	ds_read2_b32 v[21:22], v48 offset0:62 offset1:140
	s_movk_i32 s18, 0x3722
	v_mul_f16_sdwa v63, v43, s4 dst_sel:DWORD dst_unused:UNUSED_PAD src0_sel:WORD_1 src1_sel:DWORD
	s_waitcnt lgkmcnt(2)
	v_pk_add_f16 v45, v17, v16 neg_lo:[0,1] neg_hi:[0,1]
	v_fma_f16 v6, v44, s18, v63
	v_pk_add_f16 v46, v16, v17
	v_mul_f16_sdwa v62, v45, s4 dst_sel:DWORD dst_unused:UNUSED_PAD src0_sel:WORD_1 src1_sel:DWORD
	v_add_f16_e32 v5, v6, v5
	v_fma_f16 v6, v46, s18, v62
	v_mul_f16_sdwa v67, v45, s11 dst_sel:DWORD dst_unused:UNUSED_PAD src0_sel:WORD_1 src1_sel:DWORD
	s_mov_b32 s20, 0xb836
	v_pk_add_f16 v47, v18, v15 neg_lo:[0,1] neg_hi:[0,1]
	v_add_f16_e32 v4, v6, v4
	v_fma_f16 v6, v46, s12, v67
	v_pk_add_f16 v50, v15, v18
	v_mul_f16_sdwa v66, v47, s20 dst_sel:DWORD dst_unused:UNUSED_PAD src0_sel:WORD_1 src1_sel:DWORD
	s_movk_i32 s19, 0x3bf7
	v_add_f16_e32 v5, v6, v5
	v_fma_f16 v6, v50, s13, v66
	v_mul_f16_sdwa v69, v47, s19 dst_sel:DWORD dst_unused:UNUSED_PAD src0_sel:WORD_1 src1_sel:DWORD
	s_movk_i32 s27, 0x3a62
	s_waitcnt lgkmcnt(0)
	v_pk_add_f16 v52, v23, v22 neg_lo:[0,1] neg_hi:[0,1]
	v_add_f16_e32 v4, v6, v4
	v_fma_f16 v6, v50, s7, v69
	s_mov_b32 s22, 0xb8d2
	v_pk_add_f16 v54, v22, v23
	v_mul_f16_sdwa v71, v52, s27 dst_sel:DWORD dst_unused:UNUSED_PAD src0_sel:WORD_1 src1_sel:DWORD
	s_mov_b32 s26, 0xb5c8
	v_add_f16_e32 v5, v6, v5
	v_fma_f16 v6, v54, s22, v71
	v_mul_f16_sdwa v79, v52, s26 dst_sel:DWORD dst_unused:UNUSED_PAD src0_sel:WORD_1 src1_sel:DWORD
	v_pk_add_f16 v53, v24, v21 neg_lo:[0,1] neg_hi:[0,1]
	v_add_f16_e32 v4, v6, v4
	v_fma_f16 v6, v54, s16, v79
	s_mov_b32 s21, 0xba62
	v_pk_add_f16 v57, v21, v24
	v_mul_f16_sdwa v80, v53, s14 dst_sel:DWORD dst_unused:UNUSED_PAD src0_sel:WORD_1 src1_sel:DWORD
	v_add_f16_e32 v6, v6, v5
	v_fma_f16 v5, v57, s15, v80
	v_mul_f16_sdwa v92, v53, s21 dst_sel:DWORD dst_unused:UNUSED_PAD src0_sel:WORD_1 src1_sel:DWORD
	v_add_f16_e32 v5, v5, v4
	v_fma_f16 v4, v57, s22, v92
	v_mul_f16_sdwa v70, v28, s26 dst_sel:DWORD dst_unused:UNUSED_PAD src0_sel:WORD_1 src1_sel:DWORD
	s_mov_b32 s28, 0xb964
	v_add_f16_e32 v4, v4, v6
	v_fma_f16 v6, v30, s16, v70
	v_mul_f16_sdwa v72, v35, s28 dst_sel:DWORD dst_unused:UNUSED_PAD src0_sel:WORD_1 src1_sel:DWORD
	v_add_f16_e32 v6, v38, v6
	v_fma_f16 v7, v37, s15, v72
	v_lshrrev_b32_e32 v64, 16, v30
	v_mul_f16_e32 v75, 0xb964, v28
	v_add_f16_e32 v6, v7, v6
	v_fma_f16 v7, v64, s15, -v75
	v_lshrrev_b32_e32 v65, 16, v37
	v_mul_f16_e32 v76, 0xbbf7, v35
	v_add_f16_sdwa v7, v38, v7 dst_sel:DWORD dst_unused:UNUSED_PAD src0_sel:WORD_1 src1_sel:DWORD
	v_fma_f16 v10, v65, s7, -v76
	v_mul_f16_sdwa v83, v28, s4 dst_sel:DWORD dst_unused:UNUSED_PAD src0_sel:WORD_1 src1_sel:DWORD
	v_add_f16_e32 v7, v10, v7
	v_fma_f16 v10, v30, s18, v83
	v_mul_f16_sdwa v84, v35, s21 dst_sel:DWORD dst_unused:UNUSED_PAD src0_sel:WORD_1 src1_sel:DWORD
	v_add_f16_e32 v10, v38, v10
	v_fma_f16 v29, v37, s22, v84
	v_mul_f16_e32 v87, 0xbb29, v28
	v_add_f16_e32 v10, v29, v10
	v_fma_f16 v29, v64, s18, -v87
	v_mul_f16_e32 v88, 0xba62, v35
	v_add_f16_sdwa v29, v38, v29 dst_sel:DWORD dst_unused:UNUSED_PAD src0_sel:WORD_1 src1_sel:DWORD
	v_fma_f16 v31, v65, s22, -v88
	v_mul_f16_e32 v98, 0xbbf7, v28
	v_add_f16_e32 v29, v31, v29
	v_fma_f16 v31, v64, s7, -v98
	v_mul_f16_e32 v100, 0xb1e1, v35
	v_add_f16_sdwa v31, v38, v31 dst_sel:DWORD dst_unused:UNUSED_PAD src0_sel:WORD_1 src1_sel:DWORD
	v_fma_f16 v32, v65, s12, -v100
	;; [unrolled: 6-line block ×3, first 2 shown]
	v_mul_f16_sdwa v77, v40, s4 dst_sel:DWORD dst_unused:UNUSED_PAD src0_sel:WORD_1 src1_sel:DWORD
	v_add_f16_e32 v32, v34, v32
	v_fma_f16 v34, v42, s18, v77
	v_lshrrev_b32_e32 v68, 16, v42
	v_mul_f16_e32 v85, 0xba62, v40
	s_movk_i32 s4, 0x31e1
	v_add_f16_e32 v6, v34, v6
	v_fma_f16 v34, v68, s22, -v85
	v_mul_f16_sdwa v90, v40, s4 dst_sel:DWORD dst_unused:UNUSED_PAD src0_sel:WORD_1 src1_sel:DWORD
	v_add_f16_e32 v7, v34, v7
	v_fma_f16 v34, v42, s12, v90
	v_mul_f16_e32 v95, 0x31e1, v40
	v_add_f16_e32 v10, v34, v10
	v_fma_f16 v34, v68, s12, -v95
	v_mul_f16_e32 v106, 0x3bb2, v40
	v_add_f16_e32 v29, v34, v29
	v_fma_f16 v34, v68, s10, -v106
	v_mul_f16_e32 v121, 0x3964, v40
	v_add_f16_e32 v31, v34, v31
	v_fma_f16 v34, v68, s15, -v121
	v_mul_f16_sdwa v81, v43, s23 dst_sel:DWORD dst_unused:UNUSED_PAD src0_sel:WORD_1 src1_sel:DWORD
	v_add_f16_e32 v32, v34, v32
	v_fma_f16 v34, v44, s7, v81
	v_lshrrev_b32_e32 v73, 16, v44
	v_mul_f16_e32 v89, 0xb1e1, v43
	v_add_f16_e32 v6, v34, v6
	v_fma_f16 v34, v73, s12, -v89
	v_mul_f16_sdwa v94, v43, s24 dst_sel:DWORD dst_unused:UNUSED_PAD src0_sel:WORD_1 src1_sel:DWORD
	v_add_f16_e32 v7, v34, v7
	v_fma_f16 v34, v44, s10, v94
	v_mul_f16_e32 v102, 0x3bb2, v43
	v_add_f16_e32 v10, v34, v10
	v_fma_f16 v34, v73, s10, -v102
	v_mul_f16_e32 v111, 0x35c8, v43
	v_add_f16_e32 v29, v34, v29
	v_fma_f16 v34, v73, s16, -v111
	v_mul_f16_e32 v125, 0xbb29, v43
	v_add_f16_e32 v31, v34, v31
	v_fma_f16 v34, v73, s18, -v125
	v_mul_f16_sdwa v86, v45, s6 dst_sel:DWORD dst_unused:UNUSED_PAD src0_sel:WORD_1 src1_sel:DWORD
	v_add_f16_e32 v32, v34, v32
	v_fma_f16 v34, v46, s10, v86
	v_lshrrev_b32_e32 v74, 16, v46
	v_mul_f16_e32 v93, 0x3836, v45
	;; [unrolled: 19-line block ×4, first 2 shown]
	v_add_f16_e32 v39, v34, v6
	v_fma_f16 v6, v82, s18, -v103
	v_mul_f16_sdwa v107, v52, s23 dst_sel:DWORD dst_unused:UNUSED_PAD src0_sel:WORD_1 src1_sel:DWORD
	v_mul_f16_e32 v118, 0xbbf7, v52
	v_add_f16_e32 v34, v6, v7
	v_fma_f16 v6, v54, s7, v107
	v_fma_f16 v7, v82, s7, -v118
	v_mul_f16_e32 v136, 0x3a62, v52
	v_add_f16_e32 v6, v6, v10
	v_add_f16_e32 v10, v7, v29
	v_fma_f16 v7, v82, s22, -v136
	v_mul_f16_e32 v140, 0xb5c8, v52
	v_mul_f16_sdwa v134, v53, s20 dst_sel:DWORD dst_unused:UNUSED_PAD src0_sel:WORD_1 src1_sel:DWORD
	v_add_f16_e32 v29, v7, v31
	v_fma_f16 v7, v82, s16, -v140
	v_fma_f16 v31, v57, s13, v134
	v_lshrrev_b32_e32 v97, 16, v57
	v_mul_f16_e32 v126, 0x35c8, v53
	v_mul_f16_e32 v139, 0xb836, v53
	v_add_f16_e32 v123, v7, v32
	v_add_f16_e32 v6, v31, v6
	v_fma_f16 v31, v97, s16, -v126
	v_fma_f16 v32, v97, s13, -v139
	v_mul_f16_e32 v141, 0x3964, v53
	v_add_f16_e32 v31, v31, v34
	v_add_f16_e32 v34, v32, v10
	v_fma_f16 v10, v97, s15, -v141
	v_mul_f16_e32 v142, 0xba62, v53
	s_mov_b32 s4, 0x3b7639e9
	v_add_f16_e32 v32, v10, v29
	v_fma_f16 v10, v97, s22, -v142
	s_mov_b32 s5, 0xb964b5c8
	s_mov_b32 s25, 0x39e92de8
	v_pk_mul_f16 v127, v30, s4
	v_add_f16_e32 v29, v10, v123
	v_mul_f16_sdwa v123, v53, s11 dst_sel:DWORD dst_unused:UNUSED_PAD src0_sel:WORD_1 src1_sel:DWORD
	s_mov_b32 s29, 0xbbf7b964
	s_mov_b32 s30, 0x3722b8d2
	v_pk_fma_f16 v112, v28, s5, v127 op_sel:[0,0,1] op_sel_hi:[1,1,0]
	v_pk_mul_f16 v128, v37, s25
	v_pk_fma_f16 v127, v28, s5, v127 op_sel:[0,0,1] op_sel_hi:[1,1,0] neg_lo:[1,0,0] neg_hi:[1,0,0]
	v_fma_f16 v10, v57, s12, v123
	s_mov_b32 s31, 0xba62bb29
	s_mov_b32 s33, 0x2de8bbdd
	v_pk_fma_f16 v113, v35, s29, v128 op_sel:[0,0,1] op_sel_hi:[1,1,0]
	v_add_f16_sdwa v7, v38, v112 dst_sel:DWORD dst_unused:UNUSED_PAD src0_sel:DWORD src1_sel:WORD_1
	v_pk_mul_f16 v129, v42, s30
	v_pk_fma_f16 v128, v35, s29, v128 op_sel:[0,0,1] op_sel_hi:[1,1,0] neg_lo:[1,0,0] neg_hi:[1,0,0]
	v_add_f16_e32 v10, v10, v39
	v_add_f16_sdwa v39, v38, v127 dst_sel:DWORD dst_unused:UNUSED_PAD src0_sel:WORD_1 src1_sel:DWORD
	s_mov_b32 s34, 0xb1e1bbf7
	s_mov_b32 s35, 0xb461bacd
	v_add_f16_sdwa v7, v113, v7 dst_sel:DWORD dst_unused:UNUSED_PAD src0_sel:WORD_1 src1_sel:DWORD
	v_pk_fma_f16 v114, v40, s31, v129 op_sel:[0,0,1] op_sel_hi:[1,1,0]
	v_pk_mul_f16 v130, v44, s33
	v_pk_fma_f16 v129, v40, s31, v129 op_sel:[0,0,1] op_sel_hi:[1,1,0] neg_lo:[1,0,0] neg_hi:[1,0,0]
	v_add_f16_e32 v39, v128, v39
	s_mov_b32 s36, 0x3836bbb2
	s_mov_b32 s37, 0xb8d2b461
	v_add_f16_sdwa v7, v114, v7 dst_sel:DWORD dst_unused:UNUSED_PAD src0_sel:WORD_1 src1_sel:DWORD
	v_pk_fma_f16 v115, v43, s34, v130 op_sel:[0,0,1] op_sel_hi:[1,1,0]
	v_pk_mul_f16 v131, v46, s35
	v_pk_fma_f16 v130, v43, s34, v130 op_sel:[0,0,1] op_sel_hi:[1,1,0] neg_lo:[1,0,0] neg_hi:[1,0,0]
	v_add_f16_e32 v39, v129, v39
	;; [unrolled: 7-line block ×4, first 2 shown]
	s_mov_b32 s42, 0x35c8b1e1
	v_add_f16_sdwa v7, v117, v7 dst_sel:DWORD dst_unused:UNUSED_PAD src0_sel:WORD_1 src1_sel:DWORD
	v_pk_fma_f16 v120, v52, s40, v133 op_sel:[0,0,1] op_sel_hi:[1,1,0]
	v_pk_mul_f16 v135, v57, s41
	v_pk_fma_f16 v133, v52, s40, v133 op_sel:[0,0,1] op_sel_hi:[1,1,0] neg_lo:[1,0,0] neg_hi:[1,0,0]
	v_add_f16_e32 v39, v132, v39
	v_add_f16_sdwa v7, v120, v7 dst_sel:DWORD dst_unused:UNUSED_PAD src0_sel:WORD_1 src1_sel:DWORD
	v_pk_fma_f16 v122, v53, s42, v135 op_sel:[0,0,1] op_sel_hi:[1,1,0]
	v_pk_fma_f16 v135, v53, s42, v135 op_sel:[0,0,1] op_sel_hi:[1,1,0] neg_lo:[1,0,0] neg_hi:[1,0,0]
	v_add_f16_e32 v39, v133, v39
	s_movk_i32 s4, 0x4e
	v_add_f16_sdwa v7, v122, v7 dst_sel:DWORD dst_unused:UNUSED_PAD src0_sel:WORD_1 src1_sel:DWORD
	s_movk_i32 s25, 0x3b29
	v_add_f16_e32 v39, v135, v39
	v_cmp_gt_u32_e32 vcc, s4, v0
	s_barrier
	s_and_saveexec_b64 s[4:5], vcc
	s_cbranch_execz .LBB0_21
; %bb.20:
	v_mul_f16_e32 v208, 0xb836, v28
	v_fma_f16 v209, v64, s13, v208
	v_mul_f16_e32 v210, 0x3b29, v35
	v_add_f16_sdwa v209, v38, v209 dst_sel:DWORD dst_unused:UNUSED_PAD src0_sel:WORD_1 src1_sel:DWORD
	v_fma_f16 v211, v65, s18, v210
	v_add_f16_e32 v209, v211, v209
	v_mul_f16_e32 v211, 0xbbf7, v40
	v_fma_f16 v212, v68, s7, v211
	v_add_f16_e32 v209, v212, v209
	v_mul_f16_e32 v212, 0x3a62, v43
	;; [unrolled: 3-line block ×6, first 2 shown]
	v_fma_f16 v217, v97, s10, v216
	v_add_f16_e32 v209, v217, v209
	v_mul_f16_sdwa v217, v28, s20 dst_sel:DWORD dst_unused:UNUSED_PAD src0_sel:WORD_1 src1_sel:DWORD
	v_fma_f16 v218, v30, s13, -v217
	v_mul_f16_sdwa v219, v35, s25 dst_sel:DWORD dst_unused:UNUSED_PAD src0_sel:WORD_1 src1_sel:DWORD
	v_add_f16_e32 v218, v38, v218
	v_fma_f16 v220, v37, s18, -v219
	v_add_f16_e32 v218, v220, v218
	v_mul_f16_sdwa v220, v40, s23 dst_sel:DWORD dst_unused:UNUSED_PAD src0_sel:WORD_1 src1_sel:DWORD
	v_mul_f16_e32 v148, 0x2de8, v30
	v_fma_f16 v221, v42, s7, -v220
	v_mul_f16_e32 v156, 0xbbdd, v37
	v_add_f16_e32 v218, v221, v218
	v_mul_f16_sdwa v221, v43, s27 dst_sel:DWORD dst_unused:UNUSED_PAD src0_sel:WORD_1 src1_sel:DWORD
	v_sub_f16_e32 v51, v148, v51
	v_mul_f16_e32 v164, 0xb461, v42
	v_fma_f16 v222, v44, s22, -v221
	v_add_f16_e32 v51, v38, v51
	v_sub_f16_e32 v55, v156, v55
	v_mul_f16_e32 v172, 0x3b76, v44
	v_add_f16_e32 v218, v222, v218
	v_mul_f16_sdwa v222, v45, s26 dst_sel:DWORD dst_unused:UNUSED_PAD src0_sel:WORD_1 src1_sel:DWORD
	v_add_f16_e32 v51, v55, v51
	v_sub_f16_e32 v55, v164, v58
	v_mul_f16_e32 v180, 0x3722, v46
	v_fma_f16 v223, v46, s16, -v222
	v_add_f16_e32 v51, v55, v51
	v_sub_f16_e32 v55, v172, v60
	v_mul_f16_e32 v188, 0xbacd, v50
	v_add_f16_e32 v218, v223, v218
	v_mul_f16_sdwa v223, v47, s11 dst_sel:DWORD dst_unused:UNUSED_PAD src0_sel:WORD_1 src1_sel:DWORD
	v_add_f16_e32 v51, v55, v51
	v_sub_f16_e32 v55, v180, v62
	v_mul_f16_e32 v196, 0xb8d2, v54
	v_fma_f16 v224, v50, s12, -v223
	v_add_f16_e32 v51, v55, v51
	v_sub_f16_e32 v55, v188, v66
	v_pk_add_f16 v11, v38, v11
	v_mul_f16_e32 v204, 0x39e9, v57
	v_add_f16_e32 v218, v224, v218
	v_mul_f16_sdwa v224, v52, s14 dst_sel:DWORD dst_unused:UNUSED_PAD src0_sel:WORD_1 src1_sel:DWORD
	v_add_f16_e32 v51, v55, v51
	v_sub_f16_e32 v55, v196, v71
	v_pk_add_f16 v11, v11, v12
	v_mul_f16_e32 v147, 0x3722, v64
	v_fma_f16 v225, v54, s15, -v224
	v_add_f16_e32 v51, v55, v51
	v_sub_f16_e32 v55, v204, v80
	v_pk_add_f16 v11, v11, v19
	v_mul_f16_e32 v150, 0xb461, v30
	v_mul_f16_e32 v155, 0xb8d2, v65
	v_add_f16_e32 v218, v225, v218
	v_mul_f16_sdwa v225, v53, s6 dst_sel:DWORD dst_unused:UNUSED_PAD src0_sel:WORD_1 src1_sel:DWORD
	v_add_f16_e32 v51, v55, v51
	v_add_f16_e32 v55, v87, v147
	v_pk_add_f16 v11, v11, v20
	v_fma_f16 v12, v64, s13, -v208
	v_mul_f16_e32 v158, 0xbacd, v37
	v_mul_f16_e32 v163, 0xbbdd, v68
	v_fma_f16 v226, v57, s10, -v225
	v_sub_f16_e32 v56, v150, v56
	v_add_f16_sdwa v55, v38, v55 dst_sel:DWORD dst_unused:UNUSED_PAD src0_sel:WORD_1 src1_sel:DWORD
	v_add_f16_e32 v58, v88, v155
	v_pk_add_f16 v11, v11, v17
	v_add_f16_sdwa v12, v38, v12 dst_sel:DWORD dst_unused:UNUSED_PAD src0_sel:WORD_1 src1_sel:DWORD
	v_fma_f16 v17, v65, s18, -v210
	v_mul_f16_e32 v166, 0x39e9, v42
	v_mul_f16_e32 v171, 0xb461, v73
	v_add_f16_e32 v218, v226, v218
	v_mul_f16_e32 v226, 0xba62, v28
	v_add_f16_e32 v56, v38, v56
	v_sub_f16_e32 v59, v158, v59
	v_add_f16_e32 v55, v58, v55
	v_add_f16_e32 v58, v95, v163
	;; [unrolled: 1-line block ×3, first 2 shown]
	v_fma_f16 v17, v68, s7, -v211
	v_mul_f16_e32 v174, 0x3722, v44
	v_mul_f16_e32 v179, 0x39e9, v74
	v_fma_f16 v227, v64, s22, v226
	v_mul_f16_e32 v228, 0x3bb2, v35
	v_add_f16_e32 v56, v59, v56
	v_sub_f16_e32 v59, v166, v61
	v_add_f16_e32 v55, v58, v55
	v_add_f16_e32 v58, v102, v171
	;; [unrolled: 1-line block ×3, first 2 shown]
	v_fma_f16 v17, v73, s22, -v212
	v_mul_f16_e32 v182, 0xbbdd, v46
	v_mul_f16_e32 v187, 0x3b76, v78
	v_add_f16_sdwa v227, v38, v227 dst_sel:DWORD dst_unused:UNUSED_PAD src0_sel:WORD_1 src1_sel:DWORD
	v_fma_f16 v229, v65, s10, v228
	v_add_f16_e32 v56, v59, v56
	v_sub_f16_e32 v59, v174, v63
	v_add_f16_e32 v55, v58, v55
	v_add_f16_e32 v58, v105, v179
	;; [unrolled: 1-line block ×3, first 2 shown]
	v_fma_f16 v17, v74, s16, -v213
	v_mul_f16_e32 v190, 0x2de8, v50
	v_mul_f16_e32 v195, 0x2de8, v82
	v_add_f16_e32 v227, v229, v227
	v_mul_f16_e32 v229, 0xb5c8, v40
	v_add_f16_e32 v56, v59, v56
	v_sub_f16_e32 v59, v182, v67
	v_add_f16_e32 v55, v58, v55
	v_add_f16_e32 v58, v109, v187
	;; [unrolled: 1-line block ×3, first 2 shown]
	v_fma_f16 v17, v78, s12, -v214
	v_mul_f16_e32 v198, 0x3b76, v54
	v_mul_f16_e32 v203, 0xbacd, v97
	v_fma_f16 v230, v68, s16, v229
	v_add_f16_e32 v56, v59, v56
	v_sub_f16_e32 v59, v190, v69
	v_add_f16_e32 v55, v58, v55
	v_add_f16_e32 v58, v118, v195
	;; [unrolled: 1-line block ×3, first 2 shown]
	v_fma_f16 v17, v82, s15, -v215
	v_mul_f16_e32 v146, 0x3722, v30
	v_mul_f16_e32 v206, 0xb8d2, v57
	v_add_f16_e32 v227, v230, v227
	v_mul_f16_e32 v230, 0xb836, v43
	v_add_f16_e32 v56, v59, v56
	v_sub_f16_e32 v59, v198, v79
	v_add_f16_e32 v55, v58, v55
	v_add_f16_e32 v58, v139, v203
	;; [unrolled: 1-line block ×3, first 2 shown]
	v_fma_f16 v17, v97, s10, -v216
	v_mul_f16_e32 v149, 0x2de8, v64
	v_mul_f16_e32 v154, 0xb8d2, v37
	v_fma_f16 v231, v73, s13, v230
	v_add_f16_e32 v56, v59, v56
	v_sub_f16_e32 v59, v206, v92
	v_add_f16_e32 v55, v58, v55
	v_sub_f16_e32 v58, v146, v83
	v_add_f16_e32 v12, v17, v12
	v_fma_f16 v17, v30, s13, v217
	v_mul_f16_e32 v157, 0xbbdd, v65
	v_mul_f16_e32 v162, 0xbbdd, v42
	v_add_f16_e32 v227, v231, v227
	v_mul_f16_e32 v231, 0x3bf7, v45
	v_add_f16_e32 v56, v59, v56
	v_add_f16_e32 v59, v98, v149
	v_add_f16_e32 v58, v38, v58
	v_sub_f16_e32 v60, v154, v84
	v_add_f16_e32 v17, v38, v17
	v_fma_f16 v19, v37, s18, v219
	v_mul_f16_e32 v165, 0xb461, v68
	v_mul_f16_e32 v170, 0xb461, v44
	v_fma_f16 v232, v74, s7, v231
	v_add_f16_sdwa v59, v38, v59 dst_sel:DWORD dst_unused:UNUSED_PAD src0_sel:WORD_1 src1_sel:DWORD
	v_add_f16_e32 v61, v100, v157
	v_add_f16_e32 v58, v60, v58
	v_sub_f16_e32 v60, v162, v90
	v_add_f16_e32 v17, v19, v17
	v_fma_f16 v19, v42, s7, v220
	v_mul_f16_e32 v173, 0x3b76, v73
	v_mul_f16_e32 v178, 0x39e9, v46
	v_add_f16_e32 v227, v232, v227
	v_mul_f16_e32 v232, 0xb964, v47
	v_add_f16_e32 v59, v61, v59
	v_add_f16_e32 v61, v106, v165
	;; [unrolled: 1-line block ×3, first 2 shown]
	v_sub_f16_e32 v60, v170, v94
	v_add_f16_e32 v17, v19, v17
	v_fma_f16 v19, v44, s22, v221
	v_mul_f16_e32 v181, 0x3722, v74
	v_mul_f16_e32 v186, 0x3b76, v50
	v_fma_f16 v233, v78, s15, v232
	v_add_f16_e32 v59, v61, v59
	v_add_f16_e32 v61, v111, v173
	;; [unrolled: 1-line block ×3, first 2 shown]
	v_sub_f16_e32 v60, v178, v101
	v_add_f16_e32 v17, v19, v17
	v_fma_f16 v19, v46, s16, v222
	v_mul_f16_e32 v189, 0xbacd, v78
	v_mul_f16_e32 v194, 0x2de8, v54
	v_add_f16_e32 v227, v233, v227
	v_mul_f16_e32 v233, 0xb1e1, v52
	v_add_f16_e32 v59, v61, v59
	v_add_f16_e32 v61, v119, v181
	;; [unrolled: 1-line block ×3, first 2 shown]
	v_sub_f16_e32 v60, v186, v104
	v_add_f16_e32 v17, v19, v17
	v_fma_f16 v19, v50, s12, v223
	v_mul_f16_e32 v197, 0xb8d2, v82
	v_mul_f16_e32 v202, 0xbacd, v57
	v_fma_f16 v234, v82, s12, v233
	v_add_f16_e32 v59, v61, v59
	v_add_f16_e32 v61, v124, v189
	v_add_f16_e32 v58, v60, v58
	v_sub_f16_e32 v60, v194, v107
	v_add_f16_e32 v17, v19, v17
	v_fma_f16 v19, v54, s15, v224
	v_mul_f16_e32 v145, 0x39e9, v64
	v_mul_f16_e32 v205, 0x39e9, v97
	v_add_f16_e32 v227, v234, v227
	v_mul_f16_e32 v234, 0x3b29, v53
	v_add_f16_e32 v59, v61, v59
	v_add_f16_e32 v61, v136, v197
	;; [unrolled: 1-line block ×3, first 2 shown]
	v_sub_f16_e32 v60, v202, v134
	v_add_f16_e32 v17, v19, v17
	v_fma_f16 v19, v57, s10, v225
	v_pk_add_f16 v11, v11, v18
	v_mul_f16_e32 v153, 0x2de8, v65
	v_fma_f16 v235, v97, s18, v234
	v_add_f16_e32 v59, v61, v59
	v_add_f16_e32 v61, v141, v205
	;; [unrolled: 1-line block ×5, first 2 shown]
	v_fma_f16 v19, v64, s22, -v226
	v_pk_add_f16 v11, v11, v23
	v_mul_f16_e32 v161, 0xb8d2, v68
	v_add_f16_e32 v227, v235, v227
	v_mul_f16_sdwa v235, v28, s21 dst_sel:DWORD dst_unused:UNUSED_PAD src0_sel:WORD_1 src1_sel:DWORD
	v_add_f16_e32 v59, v61, v59
	v_add_f16_sdwa v60, v38, v60 dst_sel:DWORD dst_unused:UNUSED_PAD src0_sel:WORD_1 src1_sel:DWORD
	v_add_f16_e32 v61, v76, v153
	v_add_f16_sdwa v19, v38, v19 dst_sel:DWORD dst_unused:UNUSED_PAD src0_sel:WORD_1 src1_sel:DWORD
	v_fma_f16 v20, v65, s10, -v228
	v_pk_add_f16 v11, v11, v24
	v_mul_f16_e32 v169, 0xbbdd, v73
	v_fma_f16 v236, v30, s22, -v235
	v_mul_f16_sdwa v237, v35, s24 dst_sel:DWORD dst_unused:UNUSED_PAD src0_sel:WORD_1 src1_sel:DWORD
	v_add_f16_e32 v60, v61, v60
	v_add_f16_e32 v61, v85, v161
	;; [unrolled: 1-line block ×3, first 2 shown]
	v_fma_f16 v20, v68, s16, -v229
	v_pk_add_f16 v11, v11, v21
	v_mul_f16_e32 v177, 0xbacd, v74
	v_add_f16_e32 v236, v38, v236
	v_fma_f16 v238, v37, s10, -v237
	v_add_f16_e32 v60, v61, v60
	v_add_f16_e32 v61, v89, v169
	;; [unrolled: 1-line block ×3, first 2 shown]
	v_fma_f16 v20, v73, s13, -v230
	v_pk_add_f16 v11, v11, v22
	v_mul_f16_e32 v185, 0xb461, v78
	v_add_f16_e32 v236, v238, v236
	v_mul_f16_sdwa v238, v40, s26 dst_sel:DWORD dst_unused:UNUSED_PAD src0_sel:WORD_1 src1_sel:DWORD
	v_add_f16_e32 v60, v61, v60
	v_add_f16_e32 v61, v93, v177
	;; [unrolled: 1-line block ×3, first 2 shown]
	v_fma_f16 v20, v74, s7, -v231
	v_pk_add_f16 v11, v11, v15
	v_mul_f16_e32 v193, 0x3722, v82
	v_fma_f16 v239, v42, s16, -v238
	v_add_f16_e32 v60, v61, v60
	v_add_f16_e32 v61, v99, v185
	;; [unrolled: 1-line block ×3, first 2 shown]
	v_fma_f16 v20, v78, s15, -v232
	v_pk_add_f16 v11, v11, v16
	v_mul_f16_e32 v201, 0x3b76, v97
	v_add_f16_e32 v236, v239, v236
	v_mul_f16_sdwa v239, v43, s20 dst_sel:DWORD dst_unused:UNUSED_PAD src0_sel:WORD_1 src1_sel:DWORD
	v_add_f16_e32 v60, v61, v60
	v_add_f16_e32 v61, v103, v193
	;; [unrolled: 1-line block ×3, first 2 shown]
	v_fma_f16 v20, v82, s12, -v233
	v_pk_add_f16 v11, v11, v13
	v_mul_f16_e32 v144, 0x3b76, v30
	v_mul_f16_e32 v151, 0xb461, v64
	v_fma_f16 v240, v44, s13, -v239
	v_add_f16_e32 v60, v61, v60
	v_add_f16_e32 v61, v126, v201
	s_mov_b32 s23, 0xffff
	v_add_f16_e32 v19, v20, v19
	v_fma_f16 v20, v97, s18, -v234
	v_pk_add_f16 v11, v11, v14
	v_alignbit_b32 v143, v38, v38, 16
	v_mul_f16_e32 v152, 0x39e9, v37
	v_add_f16_e32 v236, v240, v236
	v_mul_f16_sdwa v240, v45, s19 dst_sel:DWORD dst_unused:UNUSED_PAD src0_sel:WORD_1 src1_sel:DWORD
	v_add_f16_e32 v108, v108, v151
	v_add_f16_e32 v60, v61, v60
	v_bfi_b32 v61, s23, v112, v127
	v_sub_f16_e32 v70, v144, v70
	v_add_f16_e32 v19, v20, v19
	v_fma_f16 v20, v30, s22, v235
	v_pk_add_f16 v8, v11, v8
	v_mul_f16_e32 v160, 0x3722, v42
	v_fma_f16 v241, v46, s7, -v240
	v_add_f16_sdwa v108, v38, v108 dst_sel:DWORD dst_unused:UNUSED_PAD src0_sel:WORD_1 src1_sel:DWORD
	v_bfi_b32 v62, s23, v113, v128
	v_add_f16_e32 v70, v38, v70
	v_sub_f16_e32 v72, v152, v72
	v_add_f16_e32 v20, v38, v20
	v_fma_f16 v38, v37, s10, v237
	v_pk_add_f16 v8, v8, v9
	v_pk_add_f16 v9, v143, v61
	v_mul_f16_e32 v159, 0xbacd, v65
	v_mul_f16_e32 v168, 0x2de8, v44
	v_add_f16_e32 v236, v241, v236
	v_mul_f16_sdwa v241, v47, s28 dst_sel:DWORD dst_unused:UNUSED_PAD src0_sel:WORD_1 src1_sel:DWORD
	v_bfi_b32 v63, s23, v114, v129
	v_add_f16_e32 v70, v72, v70
	v_sub_f16_e32 v72, v160, v77
	v_add_f16_e32 v20, v38, v20
	v_fma_f16 v38, v42, s16, v238
	v_pk_add_f16 v9, v62, v9
	v_mul_f16_e32 v167, 0x39e9, v68
	v_mul_f16_e32 v176, 0xb461, v46
	v_fma_f16 v242, v50, s15, -v241
	v_add_f16_e32 v110, v110, v159
	v_bfi_b32 v66, s23, v115, v130
	v_add_f16_e32 v70, v72, v70
	v_sub_f16_e32 v72, v168, v81
	v_add_f16_e32 v20, v38, v20
	v_fma_f16 v38, v44, s13, v239
	v_pk_add_f16 v9, v63, v9
	v_mul_f16_e32 v175, 0x3722, v73
	v_mul_f16_e32 v184, 0xb8d2, v50
	v_add_f16_e32 v236, v242, v236
	v_mul_f16_sdwa v242, v52, s11 dst_sel:DWORD dst_unused:UNUSED_PAD src0_sel:WORD_1 src1_sel:DWORD
	v_add_f16_e32 v108, v110, v108
	v_add_f16_e32 v110, v121, v167
	v_bfi_b32 v67, s23, v116, v131
	v_add_f16_e32 v70, v72, v70
	v_sub_f16_e32 v72, v176, v86
	v_add_f16_e32 v20, v38, v20
	v_fma_f16 v38, v46, s7, v240
	v_pk_add_f16 v9, v66, v9
	v_mul_f16_e32 v183, 0xbbdd, v74
	v_mul_f16_e32 v192, 0xbacd, v54
	v_fma_f16 v243, v54, s12, -v242
	v_add_f16_e32 v108, v110, v108
	v_add_f16_e32 v110, v125, v175
	v_bfi_b32 v69, s23, v117, v132
	v_add_f16_e32 v70, v72, v70
	v_sub_f16_e32 v72, v184, v91
	v_add_f16_e32 v20, v38, v20
	v_fma_f16 v38, v50, s15, v241
	v_pk_add_f16 v9, v67, v9
	v_mul_f16_e32 v191, 0x2de8, v78
	v_mul_f16_e32 v200, 0xbbdd, v57
	v_add_f16_e32 v236, v243, v236
	v_mul_f16_sdwa v243, v53, s25 dst_sel:DWORD dst_unused:UNUSED_PAD src0_sel:WORD_1 src1_sel:DWORD
	v_add_f16_e32 v108, v110, v108
	v_add_f16_e32 v110, v137, v183
	v_bfi_b32 v71, s23, v120, v133
	v_add_f16_e32 v70, v72, v70
	v_sub_f16_e32 v72, v192, v96
	v_add_f16_e32 v20, v38, v20
	v_fma_f16 v38, v54, s12, v242
	v_pk_add_f16 v9, v69, v9
	v_mul_f16_e32 v199, 0x3b76, v82
	v_add_f16_e32 v108, v110, v108
	v_add_f16_e32 v110, v138, v191
	v_bfi_b32 v75, s23, v122, v135
	v_add_f16_e32 v70, v72, v70
	v_sub_f16_e32 v72, v200, v123
	v_add_f16_e32 v20, v38, v20
	v_fma_f16 v38, v57, s18, v243
	v_pk_add_f16 v9, v71, v9
	v_mul_f16_e32 v207, 0xb8d2, v97
	v_add_f16_e32 v108, v110, v108
	v_add_f16_e32 v110, v140, v199
	;; [unrolled: 1-line block ×4, first 2 shown]
	v_lshlrev_b32_e32 v38, 6, v0
	v_pk_add_f16 v9, v75, v9
	v_fma_f16 v244, v57, s18, -v243
	v_add_f16_e32 v108, v110, v108
	v_add_f16_e32 v110, v142, v207
	v_add3_u32 v33, v33, v38, v27
	v_alignbit_b32 v11, v60, v9, 16
	v_pack_b32_f16 v9, v70, v9
	v_add_f16_e32 v236, v244, v236
	v_add_f16_e32 v108, v110, v108
	ds_write2_b32 v33, v9, v11 offset0:1 offset1:2
	v_pack_b32_f16 v9, v51, v59
	v_pack_b32_f16 v11, v58, v55
	ds_write2_b32 v33, v11, v9 offset0:3 offset1:4
	v_pack_b32_f16 v9, v56, v108
	v_pack_b32_f16 v11, v236, v227
	ds_write2_b32 v33, v9, v11 offset0:5 offset1:6
	v_pack_b32_f16 v9, v218, v209
	ds_write2_b32 v33, v8, v9 offset1:7
	v_pk_mul_f16 v8, v30, s12 op_sel_hi:[1,0]
	v_pk_fma_f16 v9, v28, s11, v8 op_sel:[0,0,1] op_sel_hi:[1,0,0] neg_lo:[1,0,0] neg_hi:[1,0,0]
	v_pk_mul_f16 v11, v37, s16 op_sel_hi:[1,0]
	v_pk_add_f16 v9, v143, v9
	v_pk_fma_f16 v13, v35, s17, v11 op_sel:[0,0,1] op_sel_hi:[1,0,0] neg_lo:[1,0,0] neg_hi:[1,0,0]
	v_pk_add_f16 v9, v13, v9
	v_pk_mul_f16 v13, v42, s13 op_sel_hi:[1,0]
	v_pk_fma_f16 v14, v40, s20, v13 op_sel:[0,0,1] op_sel_hi:[1,0,0] neg_lo:[1,0,0] neg_hi:[1,0,0]
	v_pk_add_f16 v9, v14, v9
	v_pk_mul_f16 v14, v44, s15 op_sel_hi:[1,0]
	;; [unrolled: 3-line block ×3, first 2 shown]
	v_pk_fma_f16 v8, v28, s11, v8 op_sel:[0,0,1] op_sel_hi:[1,0,0]
	v_pk_fma_f16 v16, v45, s21, v15 op_sel:[0,0,1] op_sel_hi:[1,0,0] neg_lo:[1,0,0] neg_hi:[1,0,0]
	v_pk_add_f16 v8, v143, v8
	v_pk_fma_f16 v11, v35, s17, v11 op_sel:[0,0,1] op_sel_hi:[1,0,0]
	v_pk_add_f16 v9, v16, v9
	v_pk_mul_f16 v16, v50, s18 op_sel_hi:[1,0]
	v_pk_add_f16 v8, v11, v8
	v_pk_fma_f16 v11, v40, s20, v13 op_sel:[0,0,1] op_sel_hi:[1,0,0]
	v_pk_fma_f16 v18, v47, s25, v16 op_sel:[0,0,1] op_sel_hi:[1,0,0] neg_lo:[1,0,0] neg_hi:[1,0,0]
	v_pk_add_f16 v8, v11, v8
	v_pk_fma_f16 v11, v43, s14, v14 op_sel:[0,0,1] op_sel_hi:[1,0,0]
	v_pk_add_f16 v9, v18, v9
	v_pk_mul_f16 v18, v54, s10 op_sel_hi:[1,0]
	v_pk_add_f16 v8, v11, v8
	v_pk_fma_f16 v11, v45, s21, v15 op_sel:[0,0,1] op_sel_hi:[1,0,0]
	v_pk_fma_f16 v21, v52, s6, v18 op_sel:[0,0,1] op_sel_hi:[1,0,0] neg_lo:[1,0,0] neg_hi:[1,0,0]
	v_pk_add_f16 v8, v11, v8
	v_pk_fma_f16 v11, v47, s25, v16 op_sel:[0,0,1] op_sel_hi:[1,0,0]
	v_pk_add_f16 v9, v21, v9
	v_pk_mul_f16 v21, v57, s7 op_sel_hi:[1,0]
	v_pk_add_f16 v8, v11, v8
	v_pk_fma_f16 v11, v52, s6, v18 op_sel:[0,0,1] op_sel_hi:[1,0,0]
	v_pk_fma_f16 v22, v53, s19, v21 op_sel:[0,0,1] op_sel_hi:[1,0,0] neg_lo:[1,0,0] neg_hi:[1,0,0]
	v_pk_add_f16 v8, v11, v8
	v_pk_fma_f16 v11, v53, s19, v21 op_sel:[0,0,1] op_sel_hi:[1,0,0]
	v_pk_add_f16 v9, v22, v9
	v_pk_add_f16 v8, v11, v8
	v_alignbit_b32 v11, v9, v8, 16
	v_alignbit_b32 v8, v8, v9, 16
	ds_write2_b32 v33, v8, v11 offset0:8 offset1:9
	v_pack_b32_f16 v8, v20, v19
	v_pack_b32_f16 v9, v17, v12
	s_mov_b32 s6, 0x5040100
	ds_write2_b32 v33, v9, v8 offset0:10 offset1:11
	v_perm_b32 v8, v32, v5, s6
	v_perm_b32 v9, v29, v4, s6
	ds_write2_b32 v33, v9, v8 offset0:12 offset1:13
	v_perm_b32 v8, v31, v7, s6
	v_perm_b32 v9, v34, v6, s6
	ds_write2_b32 v33, v9, v8 offset0:14 offset1:15
	v_perm_b32 v8, v39, v10, s6
	ds_write_b32 v33, v8 offset:64
.LBB0_21:
	s_or_b64 exec, exec, s[4:5]
	s_waitcnt lgkmcnt(0)
	s_barrier
	ds_read2_b32 v[8:9], v1 offset0:102 offset1:221
	ds_read2_b32 v[12:13], v41 offset0:67 offset1:186
	;; [unrolled: 1-line block ×5, first 2 shown]
	ds_read_b32 v21, v26
	ds_read_b32 v22, v1 offset:4828
	v_cmp_gt_u32_e32 vcc, 17, v0
                                        ; implicit-def: $vgpr20
	s_and_saveexec_b64 s[4:5], vcc
	s_cbranch_execz .LBB0_23
; %bb.22:
	v_add_u32_e32 v4, 0x300, v1
	v_add_u32_e32 v6, 0xa00, v1
	;; [unrolled: 1-line block ×3, first 2 shown]
	ds_read2_b32 v[4:5], v4 offset0:12 offset1:233
	ds_read2_b32 v[6:7], v6 offset0:6 offset1:227
	ds_read2_b32 v[10:11], v10 offset1:221
	s_waitcnt lgkmcnt(2)
	v_lshrrev_b32_e32 v29, 16, v4
	v_lshrrev_b32_e32 v32, 16, v5
	s_waitcnt lgkmcnt(1)
	v_lshrrev_b32_e32 v34, 16, v6
	v_lshrrev_b32_e32 v31, 16, v7
	;; [unrolled: 3-line block ×3, first 2 shown]
.LBB0_23:
	s_or_b64 exec, exec, s[4:5]
	s_movk_i32 s4, 0xf1
	v_mul_lo_u16_sdwa v23, v0, s4 dst_sel:DWORD dst_unused:UNUSED_PAD src0_sel:BYTE_0 src1_sel:DWORD
	v_add_u16_e32 v33, 0x66, v0
	v_lshrrev_b16_e32 v23, 12, v23
	v_mul_lo_u16_sdwa v40, v33, s4 dst_sel:DWORD dst_unused:UNUSED_PAD src0_sel:BYTE_0 src1_sel:DWORD
	v_mul_lo_u16_e32 v24, 17, v23
	v_lshrrev_b16_e32 v44, 12, v40
	v_sub_u16_e32 v24, v0, v24
	v_mov_b32_e32 v28, 5
	v_mul_lo_u16_e32 v40, 17, v44
	v_mul_u32_u24_sdwa v30, v24, v28 dst_sel:DWORD dst_unused:UNUSED_PAD src0_sel:BYTE_0 src1_sel:DWORD
	v_sub_u16_e32 v33, v33, v40
	v_lshlrev_b32_e32 v30, 2, v30
	v_mul_u32_u24_sdwa v28, v33, v28 dst_sel:DWORD dst_unused:UNUSED_PAD src0_sel:BYTE_0 src1_sel:DWORD
	global_load_dwordx4 v[35:38], v30, s[8:9]
	v_lshlrev_b32_e32 v28, 2, v28
	global_load_dword v30, v30, s[8:9] offset:16
	s_nop 0
	global_load_dwordx4 v[40:43], v28, s[8:9]
	global_load_dword v45, v28, s[8:9] offset:16
	s_waitcnt lgkmcnt(5)
	v_lshrrev_b32_e32 v50, 16, v13
	s_waitcnt lgkmcnt(3)
	v_lshrrev_b32_e32 v52, 16, v17
	;; [unrolled: 2-line block ×3, first 2 shown]
	v_lshrrev_b32_e32 v47, 16, v18
	v_lshrrev_b32_e32 v49, 16, v9
	;; [unrolled: 1-line block ×5, first 2 shown]
	s_movk_i32 s6, 0x3aee
	s_mov_b32 s7, 0xbaee
	v_lshrrev_b32_e32 v55, 16, v14
	v_lshrrev_b32_e32 v56, 16, v16
	;; [unrolled: 1-line block ×4, first 2 shown]
	s_movk_i32 s4, 0x198
	s_waitcnt vmcnt(0)
	s_barrier
	v_mul_f16_sdwa v59, v36, v50 dst_sel:DWORD dst_unused:UNUSED_PAD src0_sel:WORD_1 src1_sel:DWORD
	v_mul_f16_sdwa v63, v38, v52 dst_sel:DWORD dst_unused:UNUSED_PAD src0_sel:WORD_1 src1_sel:DWORD
	;; [unrolled: 1-line block ×4, first 2 shown]
	v_mul_f16_sdwa v75, v48, v45 dst_sel:DWORD dst_unused:UNUSED_PAD src0_sel:DWORD src1_sel:WORD_1
	v_mul_f16_sdwa v76, v22, v45 dst_sel:DWORD dst_unused:UNUSED_PAD src0_sel:DWORD src1_sel:WORD_1
	v_fma_f16 v13, v36, v13, -v59
	v_fma_f16 v17, v38, v17, -v63
	v_mul_f16_sdwa v57, v35, v49 dst_sel:DWORD dst_unused:UNUSED_PAD src0_sel:WORD_1 src1_sel:DWORD
	v_mul_f16_sdwa v58, v35, v9 dst_sel:DWORD dst_unused:UNUSED_PAD src0_sel:WORD_1 src1_sel:DWORD
	;; [unrolled: 1-line block ×5, first 2 shown]
	v_mul_f16_sdwa v73, v47, v43 dst_sel:DWORD dst_unused:UNUSED_PAD src0_sel:DWORD src1_sel:WORD_1
	v_mul_f16_sdwa v74, v18, v43 dst_sel:DWORD dst_unused:UNUSED_PAD src0_sel:DWORD src1_sel:WORD_1
	v_fma_f16 v36, v36, v50, v60
	v_fma_f16 v38, v38, v52, v64
	v_fma_f16 v22, v22, v45, -v75
	v_fma_f16 v45, v48, v45, v76
	v_add_f16_e32 v48, v13, v17
	v_mul_f16_sdwa v66, v30, v19 dst_sel:DWORD dst_unused:UNUSED_PAD src0_sel:WORD_1 src1_sel:DWORD
	v_fma_f16 v9, v35, v9, -v57
	v_fma_f16 v35, v35, v49, v58
	v_fma_f16 v15, v37, v15, -v61
	v_fma_f16 v37, v37, v51, v62
	v_fma_f16 v19, v30, v19, -v65
	v_fma_f16 v18, v18, v43, -v73
	v_fma_f16 v43, v47, v43, v74
	v_add_f16_e32 v47, v21, v13
	v_sub_f16_e32 v49, v36, v38
	v_fma_f16 v21, v48, -0.5, v21
	v_fma_f16 v30, v30, v53, v66
	v_add_f16_e32 v50, v28, v36
	v_add_f16_e32 v36, v36, v38
	v_sub_f16_e32 v13, v13, v17
	v_add_f16_e32 v52, v15, v19
	v_add_f16_e32 v17, v47, v17
	v_fma_f16 v47, v49, s6, v21
	v_fma_f16 v21, v49, s7, v21
	v_add_f16_e32 v49, v35, v37
	v_add_f16_e32 v51, v9, v15
	v_sub_f16_e32 v53, v37, v30
	v_fma_f16 v28, v36, -0.5, v28
	v_fma_f16 v9, v52, -0.5, v9
	v_add_f16_e32 v49, v49, v30
	v_add_f16_e32 v30, v37, v30
	v_fma_f16 v48, v13, s7, v28
	v_fma_f16 v13, v13, s6, v28
	;; [unrolled: 1-line block ×4, first 2 shown]
	v_fma_f16 v30, v30, -0.5, v35
	v_sub_f16_e32 v15, v15, v19
	v_mul_f16_sdwa v69, v41, v55 dst_sel:DWORD dst_unused:UNUSED_PAD src0_sel:WORD_1 src1_sel:DWORD
	v_add_f16_e32 v38, v50, v38
	v_add_f16_e32 v36, v51, v19
	v_fma_f16 v19, v15, s7, v30
	v_fma_f16 v15, v15, s6, v30
	v_mul_f16_e32 v50, -0.5, v9
	v_mul_f16_sdwa v70, v41, v14 dst_sel:DWORD dst_unused:UNUSED_PAD src0_sel:WORD_1 src1_sel:DWORD
	v_fma_f16 v14, v41, v14, -v69
	v_fma_f16 v50, v15, s6, v50
	v_mul_f16_e32 v15, -0.5, v15
	v_fma_f16 v41, v41, v55, v70
	v_add_f16_e32 v30, v17, v36
	v_mul_f16_e32 v35, 0x3aee, v19
	v_add_f16_e32 v52, v38, v49
	v_fma_f16 v9, v9, s7, v15
	v_sub_f16_e32 v17, v17, v36
	v_sub_f16_e32 v36, v38, v49
	v_add_f16_e32 v38, v14, v18
	v_mul_f16_sdwa v71, v42, v56 dst_sel:DWORD dst_unused:UNUSED_PAD src0_sel:WORD_1 src1_sel:DWORD
	v_fma_f16 v35, v28, 0.5, v35
	v_add_f16_e32 v15, v13, v9
	v_sub_f16_e32 v9, v13, v9
	v_add_f16_e32 v13, v8, v14
	v_fma_f16 v8, v38, -0.5, v8
	v_sub_f16_e32 v38, v41, v43
	v_mul_f16_sdwa v67, v40, v54 dst_sel:DWORD dst_unused:UNUSED_PAD src0_sel:WORD_1 src1_sel:DWORD
	v_mul_f16_sdwa v72, v42, v16 dst_sel:DWORD dst_unused:UNUSED_PAD src0_sel:WORD_1 src1_sel:DWORD
	v_fma_f16 v16, v42, v16, -v71
	v_add_f16_e32 v37, v47, v35
	v_sub_f16_e32 v35, v47, v35
	v_fma_f16 v47, v38, s6, v8
	v_fma_f16 v8, v38, s7, v8
	v_add_f16_e32 v38, v46, v41
	v_add_f16_e32 v41, v41, v43
	v_mul_f16_sdwa v68, v40, v12 dst_sel:DWORD dst_unused:UNUSED_PAD src0_sel:WORD_1 src1_sel:DWORD
	v_fma_f16 v12, v40, v12, -v67
	v_fma_f16 v42, v42, v56, v72
	v_add_f16_e32 v38, v38, v43
	v_fma_f16 v41, v41, -0.5, v46
	v_sub_f16_e32 v14, v14, v18
	v_add_f16_e32 v43, v16, v22
	v_fma_f16 v40, v40, v54, v68
	v_add_f16_e32 v13, v13, v18
	v_fma_f16 v18, v14, s7, v41
	v_fma_f16 v14, v14, s6, v41
	v_add_f16_e32 v41, v12, v16
	v_fma_f16 v12, v43, -0.5, v12
	v_sub_f16_e32 v43, v42, v45
	v_fma_f16 v46, v43, s6, v12
	v_fma_f16 v12, v43, s7, v12
	v_add_f16_e32 v43, v40, v42
	v_add_f16_e32 v42, v42, v45
	v_fma_f16 v40, v42, -0.5, v40
	v_sub_f16_e32 v16, v16, v22
	v_mul_f16_e32 v28, 0xbaee, v28
	v_add_f16_e32 v41, v41, v22
	v_fma_f16 v22, v16, s7, v40
	v_fma_f16 v19, v19, 0.5, v28
	v_mul_f16_e32 v42, 0x3aee, v22
	v_add_f16_e32 v28, v48, v19
	v_sub_f16_e32 v19, v48, v19
	v_fma_f16 v16, v16, s6, v40
	v_fma_f16 v42, v46, 0.5, v42
	v_mul_f16_e32 v48, -0.5, v12
	v_mul_f16_e32 v46, 0xbaee, v46
	v_fma_f16 v48, v16, s6, v48
	v_fma_f16 v22, v22, 0.5, v46
	v_mul_f16_e32 v16, -0.5, v16
	v_add_f16_e32 v46, v18, v22
	v_fma_f16 v12, v12, s7, v16
	v_sub_f16_e32 v18, v18, v22
	v_mov_b32_e32 v22, 2
	v_add_f16_e32 v51, v21, v50
	v_add_f16_e32 v16, v14, v12
	v_sub_f16_e32 v12, v14, v12
	v_mad_u32_u24 v14, v23, s4, 0
	v_lshlrev_b32_sdwa v23, v22, v24 dst_sel:DWORD dst_unused:UNUSED_PAD src0_sel:DWORD src1_sel:BYTE_0
	v_sub_f16_e32 v21, v21, v50
	v_add3_u32 v14, v14, v23, v27
	v_pack_b32_f16 v15, v51, v15
	v_pack_b32_f16 v17, v17, v36
	v_add_f16_e32 v43, v43, v45
	v_pack_b32_f16 v23, v30, v52
	v_pack_b32_f16 v24, v37, v28
	ds_write2_b32 v14, v15, v17 offset0:34 offset1:51
	v_pack_b32_f16 v15, v35, v19
	v_pack_b32_f16 v9, v21, v9
	v_add_f16_e32 v40, v13, v41
	v_add_f16_e32 v45, v47, v42
	;; [unrolled: 1-line block ×3, first 2 shown]
	ds_write2_b32 v14, v23, v24 offset1:17
	ds_write2_b32 v14, v15, v9 offset0:68 offset1:85
	v_mad_u32_u24 v9, v44, s4, 0
	v_lshlrev_b32_sdwa v14, v22, v33 dst_sel:DWORD dst_unused:UNUSED_PAD src0_sel:DWORD src1_sel:BYTE_0
	v_add_f16_e32 v49, v8, v48
	v_sub_f16_e32 v13, v13, v41
	v_sub_f16_e32 v38, v38, v43
	v_add3_u32 v9, v9, v14, v27
	v_pack_b32_f16 v14, v40, v50
	v_pack_b32_f16 v15, v45, v46
	v_sub_f16_e32 v41, v47, v42
	v_sub_f16_e32 v8, v8, v48
	ds_write2_b32 v9, v14, v15 offset1:17
	v_pack_b32_f16 v14, v49, v16
	v_pack_b32_f16 v13, v13, v38
	ds_write2_b32 v9, v14, v13 offset0:34 offset1:51
	v_pack_b32_f16 v13, v41, v18
	v_pack_b32_f16 v8, v8, v12
	ds_write2_b32 v9, v13, v8 offset0:68 offset1:85
	s_and_saveexec_b64 s[4:5], vcc
	s_cbranch_execz .LBB0_25
; %bb.24:
	v_add_u32_e32 v8, 0xcc, v0
	s_mov_b32 s10, 0xf0f1
	v_mul_u32_u24_sdwa v9, v8, s10 dst_sel:DWORD dst_unused:UNUSED_PAD src0_sel:WORD_0 src1_sel:DWORD
	v_lshrrev_b32_e32 v9, 20, v9
	v_mul_lo_u16_e32 v9, 17, v9
	v_sub_u16_e32 v8, v8, v9
	v_mul_u32_u24_e32 v9, 5, v8
	v_lshlrev_b32_e32 v9, 2, v9
	global_load_dwordx4 v[12:15], v9, s[8:9]
	global_load_dword v16, v9, s[8:9] offset:16
	v_lshlrev_b32_e32 v8, 2, v8
	v_add3_u32 v8, 0, v8, v27
	v_add_u32_e32 v9, 0x1000, v8
	v_add_u32_e32 v8, 0x1400, v8
	s_waitcnt vmcnt(1)
	v_mul_f16_sdwa v23, v31, v14 dst_sel:DWORD dst_unused:UNUSED_PAD src0_sel:DWORD src1_sel:WORD_1
	s_waitcnt vmcnt(0)
	v_mul_f16_sdwa v24, v20, v16 dst_sel:DWORD dst_unused:UNUSED_PAD src0_sel:DWORD src1_sel:WORD_1
	v_mul_f16_sdwa v27, v7, v14 dst_sel:DWORD dst_unused:UNUSED_PAD src0_sel:DWORD src1_sel:WORD_1
	;; [unrolled: 1-line block ×9, first 2 shown]
	v_fma_f16 v7, v7, v14, -v23
	v_fma_f16 v11, v11, v16, -v24
	v_fma_f16 v14, v31, v14, v27
	v_fma_f16 v16, v20, v16, v28
	v_fma_f16 v6, v6, v13, -v17
	v_fma_f16 v10, v10, v15, -v18
	v_fma_f16 v13, v34, v13, v19
	v_fma_f16 v15, v39, v15, v21
	v_fma_f16 v5, v5, v12, -v22
	v_fma_f16 v12, v32, v12, v30
	v_add_f16_e32 v19, v7, v11
	v_add_f16_e32 v22, v14, v16
	v_sub_f16_e32 v17, v6, v10
	v_add_f16_e32 v18, v13, v15
	v_sub_f16_e32 v20, v14, v16
	v_sub_f16_e32 v21, v7, v11
	v_add_f16_e32 v23, v29, v13
	v_add_f16_e32 v14, v12, v14
	;; [unrolled: 1-line block ×5, first 2 shown]
	v_fma_f16 v5, v19, -0.5, v5
	v_fma_f16 v12, v22, -0.5, v12
	v_sub_f16_e32 v13, v13, v15
	v_fma_f16 v18, v18, -0.5, v29
	v_add_f16_e32 v15, v23, v15
	v_add_f16_e32 v14, v14, v16
	v_fma_f16 v4, v24, -0.5, v4
	v_add_f16_e32 v6, v6, v10
	v_add_f16_e32 v7, v7, v11
	v_fma_f16 v11, v20, s7, v5
	v_fma_f16 v16, v21, s6, v12
	;; [unrolled: 1-line block ×6, first 2 shown]
	v_sub_f16_e32 v18, v15, v14
	v_fma_f16 v19, v13, s7, v4
	v_fma_f16 v4, v13, s6, v4
	v_sub_f16_e32 v13, v6, v7
	v_add_f16_e32 v14, v15, v14
	v_add_f16_e32 v6, v6, v7
	v_mul_f16_e32 v7, -0.5, v16
	v_mul_f16_e32 v15, 0xbaee, v5
	v_mul_f16_e32 v21, 0x3aee, v12
	v_mul_f16_e32 v20, -0.5, v11
	v_fma_f16 v7, v11, s7, v7
	v_fma_f16 v11, v12, 0.5, v15
	v_fma_f16 v5, v5, 0.5, v21
	v_pack_b32_f16 v6, v6, v14
	v_pack_b32_f16 v13, v13, v18
	v_fma_f16 v12, v16, s6, v20
	v_sub_f16_e32 v14, v10, v7
	v_sub_f16_e32 v18, v4, v5
	v_add_f16_e32 v7, v10, v7
	v_add_f16_e32 v10, v17, v11
	;; [unrolled: 1-line block ×3, first 2 shown]
	v_sub_f16_e32 v15, v17, v11
	v_sub_f16_e32 v16, v19, v12
	v_add_f16_e32 v11, v19, v12
	v_pack_b32_f16 v4, v4, v10
	v_pack_b32_f16 v5, v11, v7
	;; [unrolled: 1-line block ×4, first 2 shown]
	ds_write2_b32 v9, v6, v4 offset0:200 offset1:217
	ds_write2_b32 v9, v5, v13 offset0:234 offset1:251
	;; [unrolled: 1-line block ×3, first 2 shown]
.LBB0_25:
	s_or_b64 exec, exec, s[4:5]
	v_mul_u32_u24_e32 v4, 12, v0
	v_lshlrev_b32_e32 v16, 2, v4
	s_waitcnt lgkmcnt(0)
	s_barrier
	global_load_dwordx4 v[4:7], v16, s[8:9] offset:340
	global_load_dwordx4 v[8:11], v16, s[8:9] offset:356
	;; [unrolled: 1-line block ×3, first 2 shown]
	ds_read_b32 v24, v26
	ds_read2_b32 v[16:17], v1 offset0:102 offset1:204
	v_add_u32_e32 v30, 0x400, v1
	v_add_u32_e32 v20, 0x600, v1
	;; [unrolled: 1-line block ×4, first 2 shown]
	s_waitcnt lgkmcnt(0)
	v_lshrrev_b32_e32 v32, 16, v16
	v_add_u32_e32 v31, 0xc00, v1
	ds_read2_b32 v[18:19], v30 offset0:50 offset1:152
	ds_read2_b32 v[20:21], v20 offset0:126 offset1:228
	;; [unrolled: 1-line block ×5, first 2 shown]
	v_lshrrev_b32_e32 v33, 16, v17
	s_waitcnt lgkmcnt(4)
	v_lshrrev_b32_e32 v42, 16, v18
	v_lshrrev_b32_e32 v43, 16, v19
	s_waitcnt lgkmcnt(3)
	v_lshrrev_b32_e32 v34, 16, v20
	;; [unrolled: 3-line block ×5, first 2 shown]
	v_lshrrev_b32_e32 v41, 16, v29
	s_movk_i32 s6, 0x3b15
	s_movk_i32 s5, 0x388b
	;; [unrolled: 1-line block ×3, first 2 shown]
	s_mov_b32 s7, 0xb5ac
	s_mov_b32 s8, 0xb9fd
	;; [unrolled: 1-line block ×3, first 2 shown]
	s_waitcnt vmcnt(0)
	s_barrier
	v_mul_f16_sdwa v44, v4, v32 dst_sel:DWORD dst_unused:UNUSED_PAD src0_sel:WORD_1 src1_sel:DWORD
	v_mul_f16_sdwa v45, v4, v16 dst_sel:DWORD dst_unused:UNUSED_PAD src0_sel:WORD_1 src1_sel:DWORD
	;; [unrolled: 1-line block ×4, first 2 shown]
	v_fma_f16 v16, v4, v16, -v44
	v_fma_f16 v4, v4, v32, v45
	v_mul_f16_sdwa v48, v6, v42 dst_sel:DWORD dst_unused:UNUSED_PAD src0_sel:WORD_1 src1_sel:DWORD
	v_mul_f16_sdwa v49, v6, v18 dst_sel:DWORD dst_unused:UNUSED_PAD src0_sel:WORD_1 src1_sel:DWORD
	v_fma_f16 v17, v5, v17, -v46
	v_fma_f16 v5, v5, v33, v47
	v_add_f16_sdwa v33, v4, v24 dst_sel:DWORD dst_unused:UNUSED_PAD src0_sel:DWORD src1_sel:WORD_1
	v_mul_f16_sdwa v50, v7, v43 dst_sel:DWORD dst_unused:UNUSED_PAD src0_sel:WORD_1 src1_sel:DWORD
	v_mul_f16_sdwa v51, v7, v19 dst_sel:DWORD dst_unused:UNUSED_PAD src0_sel:WORD_1 src1_sel:DWORD
	v_fma_f16 v18, v6, v18, -v48
	v_fma_f16 v6, v6, v42, v49
	v_add_f16_e32 v32, v16, v24
	v_add_f16_e32 v33, v33, v5
	v_mul_f16_sdwa v52, v34, v8 dst_sel:DWORD dst_unused:UNUSED_PAD src0_sel:DWORD src1_sel:WORD_1
	v_mul_f16_sdwa v53, v20, v8 dst_sel:DWORD dst_unused:UNUSED_PAD src0_sel:DWORD src1_sel:WORD_1
	v_fma_f16 v19, v7, v19, -v50
	v_fma_f16 v7, v7, v43, v51
	v_add_f16_e32 v32, v32, v17
	v_add_f16_e32 v33, v33, v6
	v_mul_f16_sdwa v54, v35, v9 dst_sel:DWORD dst_unused:UNUSED_PAD src0_sel:DWORD src1_sel:WORD_1
	v_mul_f16_sdwa v55, v21, v9 dst_sel:DWORD dst_unused:UNUSED_PAD src0_sel:DWORD src1_sel:WORD_1
	v_fma_f16 v20, v20, v8, -v52
	v_fma_f16 v8, v34, v8, v53
	v_add_f16_e32 v32, v32, v18
	v_add_f16_e32 v33, v33, v7
	v_mul_f16_sdwa v56, v36, v10 dst_sel:DWORD dst_unused:UNUSED_PAD src0_sel:DWORD src1_sel:WORD_1
	v_mul_f16_sdwa v57, v22, v10 dst_sel:DWORD dst_unused:UNUSED_PAD src0_sel:DWORD src1_sel:WORD_1
	v_fma_f16 v21, v21, v9, -v54
	v_fma_f16 v9, v35, v9, v55
	v_add_f16_e32 v32, v32, v19
	v_add_f16_e32 v33, v33, v8
	v_mul_f16_sdwa v58, v37, v11 dst_sel:DWORD dst_unused:UNUSED_PAD src0_sel:DWORD src1_sel:WORD_1
	v_mul_f16_sdwa v59, v23, v11 dst_sel:DWORD dst_unused:UNUSED_PAD src0_sel:DWORD src1_sel:WORD_1
	v_fma_f16 v22, v22, v10, -v56
	v_fma_f16 v10, v36, v10, v57
	v_add_f16_e32 v32, v32, v20
	v_add_f16_e32 v33, v33, v9
	v_mul_f16_sdwa v60, v38, v12 dst_sel:DWORD dst_unused:UNUSED_PAD src0_sel:DWORD src1_sel:WORD_1
	v_mul_f16_sdwa v61, v26, v12 dst_sel:DWORD dst_unused:UNUSED_PAD src0_sel:DWORD src1_sel:WORD_1
	v_fma_f16 v23, v23, v11, -v58
	v_fma_f16 v11, v37, v11, v59
	v_add_f16_e32 v32, v32, v21
	v_add_f16_e32 v33, v33, v10
	v_mul_f16_sdwa v62, v39, v13 dst_sel:DWORD dst_unused:UNUSED_PAD src0_sel:DWORD src1_sel:WORD_1
	v_mul_f16_sdwa v63, v27, v13 dst_sel:DWORD dst_unused:UNUSED_PAD src0_sel:DWORD src1_sel:WORD_1
	v_fma_f16 v26, v26, v12, -v60
	v_fma_f16 v12, v38, v12, v61
	v_add_f16_e32 v32, v32, v22
	v_add_f16_e32 v33, v33, v11
	v_mul_f16_sdwa v64, v40, v14 dst_sel:DWORD dst_unused:UNUSED_PAD src0_sel:DWORD src1_sel:WORD_1
	v_mul_f16_sdwa v65, v28, v14 dst_sel:DWORD dst_unused:UNUSED_PAD src0_sel:DWORD src1_sel:WORD_1
	v_mul_f16_sdwa v66, v41, v15 dst_sel:DWORD dst_unused:UNUSED_PAD src0_sel:DWORD src1_sel:WORD_1
	v_mul_f16_sdwa v67, v29, v15 dst_sel:DWORD dst_unused:UNUSED_PAD src0_sel:DWORD src1_sel:WORD_1
	v_fma_f16 v27, v27, v13, -v62
	v_fma_f16 v13, v39, v13, v63
	v_add_f16_e32 v32, v32, v23
	v_add_f16_e32 v33, v33, v12
	v_fma_f16 v28, v28, v14, -v64
	v_fma_f16 v14, v40, v14, v65
	v_fma_f16 v29, v29, v15, -v66
	v_fma_f16 v15, v41, v15, v67
	v_add_f16_e32 v32, v32, v26
	v_add_f16_e32 v33, v33, v13
	;; [unrolled: 1-line block ×6, first 2 shown]
	v_sub_f16_e32 v16, v16, v29
	v_sub_f16_e32 v4, v4, v15
	v_add_f16_e32 v32, v32, v28
	v_add_f16_e32 v33, v33, v15
	v_mul_f16_e32 v15, 0xb770, v4
	v_mul_f16_e32 v36, 0xb770, v16
	;; [unrolled: 1-line block ×12, first 2 shown]
	v_add_f16_e32 v32, v32, v29
	v_fma_f16 v29, v34, s6, -v15
	v_fma_f16 v37, v35, s6, v36
	v_fma_f16 v15, v34, s6, v15
	v_fma_f16 v36, v35, s6, -v36
	v_fma_f16 v39, v34, s5, -v38
	v_fma_f16 v41, v35, s5, v40
	v_fma_f16 v38, v34, s5, v38
	v_fma_f16 v40, v35, s5, -v40
	v_fma_f16 v43, v34, s4, -v42
	v_fma_f16 v45, v35, s4, v44
	v_fma_f16 v42, v34, s4, v42
	v_fma_f16 v44, v35, s4, -v44
	v_fma_f16 v47, v34, s7, -v46
	v_fma_f16 v49, v35, s7, v48
	v_fma_f16 v46, v34, s7, v46
	v_fma_f16 v48, v35, s7, -v48
	v_fma_f16 v51, v34, s8, -v50
	v_fma_f16 v53, v35, s8, v52
	v_fma_f16 v50, v34, s8, v50
	v_fma_f16 v52, v35, s8, -v52
	v_fma_f16 v54, v34, s9, -v4
	v_fma_f16 v55, v35, s9, v16
	v_fma_f16 v4, v34, s9, v4
	v_fma_f16 v16, v35, s9, -v16
	v_add_f16_e32 v34, v5, v14
	v_sub_f16_e32 v5, v5, v14
	v_add_f16_e32 v29, v29, v24
	v_add_f16_sdwa v37, v37, v24 dst_sel:DWORD dst_unused:UNUSED_PAD src0_sel:DWORD src1_sel:WORD_1
	v_add_f16_e32 v15, v15, v24
	v_add_f16_sdwa v36, v36, v24 dst_sel:DWORD dst_unused:UNUSED_PAD src0_sel:DWORD src1_sel:WORD_1
	;; [unrolled: 2-line block ×12, first 2 shown]
	v_add_f16_e32 v24, v17, v28
	v_mul_f16_e32 v14, 0xba95, v5
	v_sub_f16_e32 v17, v17, v28
	v_fma_f16 v28, v24, s5, -v14
	v_add_f16_e32 v28, v28, v29
	v_mul_f16_e32 v29, 0xba95, v17
	v_fma_f16 v14, v24, s5, v14
	v_fma_f16 v35, v34, s5, v29
	v_add_f16_e32 v14, v14, v15
	v_fma_f16 v15, v34, s5, -v29
	v_mul_f16_e32 v29, 0xbb7b, v5
	v_add_f16_e32 v35, v35, v37
	v_add_f16_e32 v15, v15, v36
	v_fma_f16 v36, v24, s7, -v29
	v_mul_f16_e32 v37, 0xbb7b, v17
	v_fma_f16 v29, v24, s7, v29
	v_add_f16_e32 v36, v36, v39
	v_fma_f16 v39, v34, s7, v37
	v_add_f16_e32 v29, v29, v38
	v_fma_f16 v37, v34, s7, -v37
	v_mul_f16_e32 v38, 0xb3a8, v5
	v_add_f16_e32 v39, v39, v41
	v_add_f16_e32 v37, v37, v40
	v_fma_f16 v40, v24, s9, -v38
	v_mul_f16_e32 v41, 0xb3a8, v17
	v_fma_f16 v38, v24, s9, v38
	v_add_f16_e32 v40, v40, v43
	;; [unrolled: 10-line block ×3, first 2 shown]
	v_fma_f16 v47, v34, s8, v45
	v_add_f16_e32 v42, v42, v46
	v_fma_f16 v45, v34, s8, -v45
	v_mul_f16_e32 v46, 0x3bf1, v5
	v_add_f16_e32 v47, v47, v49
	v_add_f16_e32 v45, v45, v48
	v_fma_f16 v48, v24, s4, -v46
	v_mul_f16_e32 v49, 0x3bf1, v17
	v_fma_f16 v46, v24, s4, v46
	v_mul_f16_e32 v5, 0x3770, v5
	v_add_f16_e32 v48, v48, v51
	v_fma_f16 v51, v34, s4, v49
	v_add_f16_e32 v46, v46, v50
	v_fma_f16 v49, v34, s4, -v49
	v_fma_f16 v50, v24, s6, -v5
	v_mul_f16_e32 v17, 0x3770, v17
	v_fma_f16 v5, v24, s6, v5
	v_add_f16_e32 v49, v49, v52
	v_fma_f16 v52, v34, s6, v17
	v_add_f16_e32 v4, v5, v4
	v_fma_f16 v5, v34, s6, -v17
	v_add_f16_e32 v17, v6, v13
	v_sub_f16_e32 v6, v6, v13
	v_add_f16_e32 v5, v5, v16
	v_add_f16_e32 v16, v18, v27
	v_sub_f16_e32 v18, v18, v27
	v_mul_f16_e32 v13, 0xbbf1, v6
	v_fma_f16 v24, v16, s4, -v13
	v_mul_f16_e32 v27, 0xbbf1, v18
	v_fma_f16 v13, v16, s4, v13
	v_add_f16_e32 v13, v13, v14
	v_fma_f16 v14, v17, s4, -v27
	v_add_f16_e32 v14, v14, v15
	v_mul_f16_e32 v15, 0xb3a8, v6
	v_add_f16_e32 v24, v24, v28
	v_fma_f16 v28, v17, s4, v27
	v_fma_f16 v27, v16, s9, -v15
	v_mul_f16_e32 v34, 0xb3a8, v18
	v_fma_f16 v15, v16, s9, v15
	v_add_f16_e32 v28, v28, v35
	v_fma_f16 v35, v17, s9, v34
	v_add_f16_e32 v15, v15, v29
	v_fma_f16 v29, v17, s9, -v34
	v_mul_f16_e32 v34, 0x3b7b, v6
	v_add_f16_e32 v27, v27, v36
	v_fma_f16 v36, v16, s7, -v34
	v_fma_f16 v34, v16, s7, v34
	v_add_f16_e32 v29, v29, v37
	v_mul_f16_e32 v37, 0x3b7b, v18
	v_add_f16_e32 v34, v34, v38
	v_mul_f16_e32 v38, 0x3770, v6
	v_add_f16_e32 v35, v35, v39
	v_add_f16_e32 v36, v36, v40
	v_fma_f16 v39, v17, s7, v37
	v_fma_f16 v37, v17, s7, -v37
	v_fma_f16 v40, v16, s6, -v38
	v_fma_f16 v38, v16, s6, v38
	v_add_f16_e32 v37, v37, v41
	v_mul_f16_e32 v41, 0x3770, v18
	v_add_f16_e32 v38, v38, v42
	v_mul_f16_e32 v42, 0xba95, v6
	v_add_f16_e32 v39, v39, v43
	v_add_f16_e32 v40, v40, v44
	v_fma_f16 v43, v17, s6, v41
	v_fma_f16 v41, v17, s6, -v41
	v_fma_f16 v44, v16, s5, -v42
	v_fma_f16 v42, v16, s5, v42
	v_mul_f16_e32 v6, 0xb94e, v6
	v_add_f16_e32 v41, v41, v45
	v_mul_f16_e32 v45, 0xba95, v18
	v_add_f16_e32 v42, v42, v46
	v_fma_f16 v46, v16, s8, -v6
	v_mul_f16_e32 v18, 0xb94e, v18
	v_fma_f16 v6, v16, s8, v6
	v_add_f16_e32 v4, v6, v4
	v_fma_f16 v6, v17, s8, -v18
	v_add_f16_e32 v16, v7, v12
	v_sub_f16_e32 v7, v7, v12
	v_add_f16_e32 v43, v43, v47
	v_add_f16_e32 v44, v44, v48
	v_fma_f16 v47, v17, s5, v45
	v_fma_f16 v45, v17, s5, -v45
	v_fma_f16 v48, v17, s8, v18
	v_add_f16_e32 v5, v6, v5
	v_add_f16_e32 v6, v19, v26
	v_sub_f16_e32 v17, v19, v26
	v_mul_f16_e32 v12, 0xbb7b, v7
	v_fma_f16 v18, v6, s7, -v12
	v_mul_f16_e32 v19, 0xbb7b, v17
	v_fma_f16 v12, v6, s7, v12
	v_add_f16_e32 v12, v12, v13
	v_fma_f16 v13, v16, s7, -v19
	v_add_f16_e32 v13, v13, v14
	v_mul_f16_e32 v14, 0x394e, v7
	v_add_f16_e32 v18, v18, v24
	v_fma_f16 v24, v16, s7, v19
	v_fma_f16 v19, v6, s8, -v14
	v_mul_f16_e32 v26, 0x394e, v17
	v_fma_f16 v14, v6, s8, v14
	v_add_f16_e32 v19, v19, v27
	v_fma_f16 v27, v16, s8, v26
	v_add_f16_e32 v14, v14, v15
	v_fma_f16 v15, v16, s8, -v26
	v_mul_f16_e32 v26, 0x3770, v7
	v_add_f16_e32 v24, v24, v28
	v_fma_f16 v28, v6, s6, -v26
	v_fma_f16 v26, v6, s6, v26
	v_add_f16_e32 v15, v15, v29
	v_mul_f16_e32 v29, 0x3770, v17
	v_add_f16_e32 v26, v26, v34
	v_mul_f16_e32 v34, 0xbbf1, v7
	v_add_f16_e32 v27, v27, v35
	v_add_f16_e32 v28, v28, v36
	v_fma_f16 v35, v16, s6, v29
	v_fma_f16 v29, v16, s6, -v29
	v_fma_f16 v36, v6, s4, -v34
	v_fma_f16 v34, v6, s4, v34
	v_add_f16_e32 v29, v29, v37
	v_mul_f16_e32 v37, 0xbbf1, v17
	v_add_f16_e32 v34, v34, v38
	v_mul_f16_e32 v38, 0x33a8, v7
	v_add_f16_e32 v35, v35, v39
	v_add_f16_e32 v36, v36, v40
	v_fma_f16 v39, v16, s4, v37
	v_fma_f16 v37, v16, s4, -v37
	v_fma_f16 v40, v6, s9, -v38
	v_fma_f16 v38, v6, s9, v38
	v_mul_f16_e32 v7, 0x3a95, v7
	v_add_f16_e32 v37, v37, v41
	v_mul_f16_e32 v41, 0x33a8, v17
	v_add_f16_e32 v38, v38, v42
	v_fma_f16 v42, v6, s5, -v7
	v_mul_f16_e32 v17, 0x3a95, v17
	v_fma_f16 v6, v6, s5, v7
	v_add_f16_e32 v4, v6, v4
	v_fma_f16 v6, v16, s5, -v17
	v_add_f16_e32 v7, v8, v11
	v_sub_f16_e32 v8, v8, v11
	v_add_f16_e32 v5, v6, v5
	v_add_f16_e32 v6, v20, v23
	v_mul_f16_e32 v11, 0xb94e, v8
	v_add_f16_e32 v39, v39, v43
	v_add_f16_e32 v40, v40, v44
	v_fma_f16 v43, v16, s9, v41
	v_fma_f16 v41, v16, s9, -v41
	v_fma_f16 v44, v16, s5, v17
	v_sub_f16_e32 v16, v20, v23
	v_fma_f16 v17, v6, s8, -v11
	v_add_f16_e32 v17, v17, v18
	v_mul_f16_e32 v18, 0xb94e, v16
	v_fma_f16 v11, v6, s8, v11
	v_add_f16_e32 v11, v11, v12
	v_fma_f16 v12, v7, s8, -v18
	v_add_f16_e32 v12, v12, v13
	v_mul_f16_e32 v13, 0x3bf1, v8
	v_fma_f16 v20, v7, s8, v18
	v_fma_f16 v18, v6, s4, -v13
	v_add_f16_e32 v18, v18, v19
	v_mul_f16_e32 v19, 0x3bf1, v16
	v_fma_f16 v13, v6, s4, v13
	v_add_f16_e32 v13, v13, v14
	v_fma_f16 v14, v7, s4, -v19
	v_add_f16_e32 v14, v14, v15
	v_mul_f16_e32 v15, 0xba95, v8
	v_fma_f16 v23, v7, s4, v19
	v_fma_f16 v19, v6, s5, -v15
	v_fma_f16 v15, v6, s5, v15
	v_add_f16_e32 v20, v20, v24
	v_mul_f16_e32 v24, 0xba95, v16
	v_add_f16_e32 v15, v15, v26
	v_mul_f16_e32 v26, 0x33a8, v8
	v_add_f16_e32 v23, v23, v27
	v_add_f16_e32 v19, v19, v28
	v_fma_f16 v27, v7, s5, v24
	v_fma_f16 v24, v7, s5, -v24
	v_fma_f16 v28, v6, s9, -v26
	v_fma_f16 v26, v6, s9, v26
	v_add_f16_e32 v24, v24, v29
	v_mul_f16_e32 v29, 0x33a8, v16
	v_add_f16_e32 v26, v26, v34
	v_mul_f16_e32 v34, 0x3770, v8
	v_add_f16_e32 v27, v27, v35
	v_add_f16_e32 v28, v28, v36
	v_fma_f16 v35, v7, s9, v29
	v_fma_f16 v29, v7, s9, -v29
	v_fma_f16 v36, v6, s6, -v34
	v_fma_f16 v34, v6, s6, v34
	v_mul_f16_e32 v8, 0xbb7b, v8
	v_add_f16_e32 v29, v29, v37
	v_mul_f16_e32 v37, 0x3770, v16
	v_add_f16_e32 v34, v34, v38
	v_fma_f16 v38, v6, s7, -v8
	v_mul_f16_e32 v16, 0xbb7b, v16
	v_fma_f16 v6, v6, s7, v8
	v_add_f16_e32 v35, v35, v39
	v_add_f16_e32 v36, v36, v40
	v_fma_f16 v39, v7, s6, v37
	v_fma_f16 v37, v7, s6, -v37
	v_fma_f16 v40, v7, s7, v16
	v_add_f16_e32 v4, v6, v4
	v_fma_f16 v6, v7, s7, -v16
	v_add_f16_e32 v7, v9, v10
	v_sub_f16_e32 v9, v9, v10
	v_add_f16_e32 v5, v6, v5
	v_add_f16_e32 v6, v21, v22
	v_mul_f16_e32 v10, 0xb3a8, v9
	v_sub_f16_e32 v8, v21, v22
	v_fma_f16 v16, v6, s9, -v10
	v_add_f16_e32 v16, v16, v17
	v_mul_f16_e32 v17, 0xb3a8, v8
	v_fma_f16 v10, v6, s9, v10
	v_add_f16_e32 v10, v10, v11
	v_fma_f16 v11, v7, s9, -v17
	v_add_f16_e32 v11, v11, v12
	v_mul_f16_e32 v12, 0x3770, v9
	v_fma_f16 v21, v7, s9, v17
	v_fma_f16 v17, v6, s6, -v12
	v_add_f16_e32 v17, v17, v18
	v_mul_f16_e32 v18, 0x3770, v8
	v_fma_f16 v12, v6, s6, v12
	v_add_f16_e32 v12, v12, v13
	v_fma_f16 v13, v7, s6, -v18
	v_add_f16_e32 v13, v13, v14
	v_mul_f16_e32 v14, 0xb94e, v9
	v_add_f16_e32 v20, v21, v20
	v_fma_f16 v21, v7, s6, v18
	v_fma_f16 v18, v6, s8, -v14
	v_add_f16_e32 v18, v18, v19
	v_mul_f16_e32 v19, 0xb94e, v8
	v_fma_f16 v14, v6, s8, v14
	v_fma_f16 v22, v7, s8, v19
	v_add_f16_e32 v14, v14, v15
	v_fma_f16 v15, v7, s8, -v19
	v_mul_f16_e32 v19, 0x3a95, v9
	v_add_f16_e32 v21, v21, v23
	v_fma_f16 v23, v6, s5, -v19
	v_fma_f16 v19, v6, s5, v19
	v_add_f16_e32 v15, v15, v24
	v_mul_f16_e32 v24, 0x3a95, v8
	v_add_f16_e32 v19, v19, v26
	v_mul_f16_e32 v26, 0xbb7b, v9
	v_add_f16_e32 v51, v51, v53
	v_add_f16_e32 v22, v22, v27
	;; [unrolled: 1-line block ×3, first 2 shown]
	v_fma_f16 v27, v7, s5, v24
	v_fma_f16 v24, v7, s5, -v24
	v_fma_f16 v28, v6, s7, -v26
	v_fma_f16 v26, v6, s7, v26
	v_mul_f16_e32 v9, 0x3bf1, v9
	v_add_f16_e32 v50, v50, v54
	v_add_f16_e32 v52, v52, v55
	;; [unrolled: 1-line block ×4, first 2 shown]
	v_mul_f16_e32 v29, 0xbb7b, v8
	v_add_f16_e32 v26, v26, v34
	v_fma_f16 v34, v6, s4, -v9
	v_mul_f16_e32 v8, 0x3bf1, v8
	v_fma_f16 v6, v6, s4, v9
	v_add_f16_e32 v46, v46, v50
	v_add_f16_e32 v48, v48, v52
	;; [unrolled: 1-line block ×4, first 2 shown]
	v_fma_f16 v6, v7, s4, -v8
	v_add_f16_e32 v45, v45, v49
	v_add_f16_e32 v42, v42, v46
	;; [unrolled: 1-line block ×6, first 2 shown]
	v_fma_f16 v35, v7, s7, v29
	v_fma_f16 v29, v7, s7, -v29
	v_fma_f16 v36, v7, s4, v8
	v_add_f16_e32 v5, v6, v5
	v_pack_b32_f16 v6, v32, v33
	v_pack_b32_f16 v7, v16, v20
	v_add_f16_e32 v41, v41, v45
	v_add_f16_e32 v38, v38, v42
	;; [unrolled: 1-line block ×4, first 2 shown]
	ds_write2_b32 v1, v6, v7 offset1:102
	v_pack_b32_f16 v6, v17, v21
	v_pack_b32_f16 v7, v18, v22
	v_add_u32_e32 v8, 0x200, v1
	v_add_f16_e32 v37, v37, v41
	v_add_f16_e32 v34, v34, v38
	;; [unrolled: 1-line block ×3, first 2 shown]
	ds_write2_b32 v8, v6, v7 offset0:76 offset1:178
	v_pack_b32_f16 v6, v23, v27
	v_pack_b32_f16 v7, v28, v35
	v_add_f16_e32 v29, v29, v37
	ds_write2_b32 v30, v6, v7 offset0:152 offset1:254
	v_pack_b32_f16 v6, v34, v36
	v_pack_b32_f16 v4, v4, v5
	v_add_u32_e32 v5, 0x800, v1
	ds_write2_b32 v5, v6, v4 offset0:100 offset1:202
	v_pack_b32_f16 v4, v26, v29
	v_pack_b32_f16 v5, v19, v24
	ds_write2_b32 v31, v4, v5 offset0:48 offset1:150
	v_pack_b32_f16 v4, v14, v15
	v_pack_b32_f16 v5, v12, v13
	v_add_u32_e32 v6, 0xe00, v1
	ds_write2_b32 v6, v4, v5 offset0:124 offset1:226
	v_pack_b32_f16 v4, v10, v11
	ds_write_b32 v1, v4 offset:4896
	s_waitcnt lgkmcnt(0)
	s_barrier
	s_and_saveexec_b64 s[4:5], s[0:1]
	s_cbranch_execz .LBB0_27
; %bb.26:
	v_lshl_add_u32 v6, v0, 2, v25
	v_mov_b32_e32 v1, 0
	ds_read2_b32 v[4:5], v6 offset1:102
	v_mov_b32_e32 v7, s3
	v_add_co_u32_e32 v8, vcc, s2, v2
	v_addc_co_u32_e32 v7, vcc, v7, v3, vcc
	v_lshlrev_b64 v[2:3], 2, v[0:1]
	v_add_co_u32_e32 v2, vcc, v8, v2
	v_addc_co_u32_e32 v3, vcc, v7, v3, vcc
	s_waitcnt lgkmcnt(0)
	global_store_dword v[2:3], v4, off
	v_add_u32_e32 v2, 0x66, v0
	v_mov_b32_e32 v3, v1
	v_lshlrev_b64 v[2:3], 2, v[2:3]
	v_add_u32_e32 v4, 0x200, v6
	v_add_co_u32_e32 v2, vcc, v8, v2
	v_addc_co_u32_e32 v3, vcc, v7, v3, vcc
	global_store_dword v[2:3], v5, off
	v_add_u32_e32 v2, 0xcc, v0
	v_mov_b32_e32 v3, v1
	ds_read2_b32 v[4:5], v4 offset0:76 offset1:178
	v_lshlrev_b64 v[2:3], 2, v[2:3]
	v_add_co_u32_e32 v2, vcc, v8, v2
	v_addc_co_u32_e32 v3, vcc, v7, v3, vcc
	s_waitcnt lgkmcnt(0)
	global_store_dword v[2:3], v4, off
	v_add_u32_e32 v2, 0x132, v0
	v_mov_b32_e32 v3, v1
	v_lshlrev_b64 v[2:3], 2, v[2:3]
	v_add_u32_e32 v4, 0x400, v6
	v_add_co_u32_e32 v2, vcc, v8, v2
	v_addc_co_u32_e32 v3, vcc, v7, v3, vcc
	global_store_dword v[2:3], v5, off
	v_add_u32_e32 v2, 0x198, v0
	v_mov_b32_e32 v3, v1
	ds_read2_b32 v[4:5], v4 offset0:152 offset1:254
	;; [unrolled: 15-line block ×5, first 2 shown]
	v_lshlrev_b64 v[2:3], 2, v[2:3]
	v_add_co_u32_e32 v2, vcc, v8, v2
	v_addc_co_u32_e32 v3, vcc, v7, v3, vcc
	s_waitcnt lgkmcnt(0)
	global_store_dword v[2:3], v4, off
	v_add_u32_e32 v2, 0x462, v0
	v_mov_b32_e32 v3, v1
	v_lshlrev_b64 v[2:3], 2, v[2:3]
	v_add_u32_e32 v0, 0x4c8, v0
	v_add_co_u32_e32 v2, vcc, v8, v2
	v_addc_co_u32_e32 v3, vcc, v7, v3, vcc
	global_store_dword v[2:3], v5, off
	ds_read_b32 v2, v6 offset:4896
	v_lshlrev_b64 v[0:1], 2, v[0:1]
	v_add_co_u32_e32 v0, vcc, v8, v0
	v_addc_co_u32_e32 v1, vcc, v7, v1, vcc
	s_waitcnt lgkmcnt(0)
	global_store_dword v[0:1], v2, off
.LBB0_27:
	s_endpgm
	.section	.rodata,"a",@progbits
	.p2align	6, 0x0
	.amdhsa_kernel fft_rtc_fwd_len1326_factors_17_6_13_wgs_204_tpt_102_halfLds_half_ip_CI_unitstride_sbrr_C2R_dirReg
		.amdhsa_group_segment_fixed_size 0
		.amdhsa_private_segment_fixed_size 0
		.amdhsa_kernarg_size 88
		.amdhsa_user_sgpr_count 6
		.amdhsa_user_sgpr_private_segment_buffer 1
		.amdhsa_user_sgpr_dispatch_ptr 0
		.amdhsa_user_sgpr_queue_ptr 0
		.amdhsa_user_sgpr_kernarg_segment_ptr 1
		.amdhsa_user_sgpr_dispatch_id 0
		.amdhsa_user_sgpr_flat_scratch_init 0
		.amdhsa_user_sgpr_private_segment_size 0
		.amdhsa_uses_dynamic_stack 0
		.amdhsa_system_sgpr_private_segment_wavefront_offset 0
		.amdhsa_system_sgpr_workgroup_id_x 1
		.amdhsa_system_sgpr_workgroup_id_y 0
		.amdhsa_system_sgpr_workgroup_id_z 0
		.amdhsa_system_sgpr_workgroup_info 0
		.amdhsa_system_vgpr_workitem_id 0
		.amdhsa_next_free_vgpr 245
		.amdhsa_next_free_sgpr 43
		.amdhsa_reserve_vcc 1
		.amdhsa_reserve_flat_scratch 0
		.amdhsa_float_round_mode_32 0
		.amdhsa_float_round_mode_16_64 0
		.amdhsa_float_denorm_mode_32 3
		.amdhsa_float_denorm_mode_16_64 3
		.amdhsa_dx10_clamp 1
		.amdhsa_ieee_mode 1
		.amdhsa_fp16_overflow 0
		.amdhsa_exception_fp_ieee_invalid_op 0
		.amdhsa_exception_fp_denorm_src 0
		.amdhsa_exception_fp_ieee_div_zero 0
		.amdhsa_exception_fp_ieee_overflow 0
		.amdhsa_exception_fp_ieee_underflow 0
		.amdhsa_exception_fp_ieee_inexact 0
		.amdhsa_exception_int_div_zero 0
	.end_amdhsa_kernel
	.text
.Lfunc_end0:
	.size	fft_rtc_fwd_len1326_factors_17_6_13_wgs_204_tpt_102_halfLds_half_ip_CI_unitstride_sbrr_C2R_dirReg, .Lfunc_end0-fft_rtc_fwd_len1326_factors_17_6_13_wgs_204_tpt_102_halfLds_half_ip_CI_unitstride_sbrr_C2R_dirReg
                                        ; -- End function
	.section	.AMDGPU.csdata,"",@progbits
; Kernel info:
; codeLenInByte = 13908
; NumSgprs: 47
; NumVgprs: 245
; ScratchSize: 0
; MemoryBound: 0
; FloatMode: 240
; IeeeMode: 1
; LDSByteSize: 0 bytes/workgroup (compile time only)
; SGPRBlocks: 5
; VGPRBlocks: 61
; NumSGPRsForWavesPerEU: 47
; NumVGPRsForWavesPerEU: 245
; Occupancy: 1
; WaveLimiterHint : 1
; COMPUTE_PGM_RSRC2:SCRATCH_EN: 0
; COMPUTE_PGM_RSRC2:USER_SGPR: 6
; COMPUTE_PGM_RSRC2:TRAP_HANDLER: 0
; COMPUTE_PGM_RSRC2:TGID_X_EN: 1
; COMPUTE_PGM_RSRC2:TGID_Y_EN: 0
; COMPUTE_PGM_RSRC2:TGID_Z_EN: 0
; COMPUTE_PGM_RSRC2:TIDIG_COMP_CNT: 0
	.type	__hip_cuid_83d7b4bb9b98c910,@object ; @__hip_cuid_83d7b4bb9b98c910
	.section	.bss,"aw",@nobits
	.globl	__hip_cuid_83d7b4bb9b98c910
__hip_cuid_83d7b4bb9b98c910:
	.byte	0                               ; 0x0
	.size	__hip_cuid_83d7b4bb9b98c910, 1

	.ident	"AMD clang version 19.0.0git (https://github.com/RadeonOpenCompute/llvm-project roc-6.4.0 25133 c7fe45cf4b819c5991fe208aaa96edf142730f1d)"
	.section	".note.GNU-stack","",@progbits
	.addrsig
	.addrsig_sym __hip_cuid_83d7b4bb9b98c910
	.amdgpu_metadata
---
amdhsa.kernels:
  - .args:
      - .actual_access:  read_only
        .address_space:  global
        .offset:         0
        .size:           8
        .value_kind:     global_buffer
      - .offset:         8
        .size:           8
        .value_kind:     by_value
      - .actual_access:  read_only
        .address_space:  global
        .offset:         16
        .size:           8
        .value_kind:     global_buffer
      - .actual_access:  read_only
        .address_space:  global
        .offset:         24
        .size:           8
        .value_kind:     global_buffer
      - .offset:         32
        .size:           8
        .value_kind:     by_value
      - .actual_access:  read_only
        .address_space:  global
        .offset:         40
        .size:           8
        .value_kind:     global_buffer
      - .actual_access:  read_only
        .address_space:  global
        .offset:         48
        .size:           8
        .value_kind:     global_buffer
      - .offset:         56
        .size:           4
        .value_kind:     by_value
      - .actual_access:  read_only
        .address_space:  global
        .offset:         64
        .size:           8
        .value_kind:     global_buffer
      - .actual_access:  read_only
        .address_space:  global
        .offset:         72
        .size:           8
        .value_kind:     global_buffer
      - .address_space:  global
        .offset:         80
        .size:           8
        .value_kind:     global_buffer
    .group_segment_fixed_size: 0
    .kernarg_segment_align: 8
    .kernarg_segment_size: 88
    .language:       OpenCL C
    .language_version:
      - 2
      - 0
    .max_flat_workgroup_size: 204
    .name:           fft_rtc_fwd_len1326_factors_17_6_13_wgs_204_tpt_102_halfLds_half_ip_CI_unitstride_sbrr_C2R_dirReg
    .private_segment_fixed_size: 0
    .sgpr_count:     47
    .sgpr_spill_count: 0
    .symbol:         fft_rtc_fwd_len1326_factors_17_6_13_wgs_204_tpt_102_halfLds_half_ip_CI_unitstride_sbrr_C2R_dirReg.kd
    .uniform_work_group_size: 1
    .uses_dynamic_stack: false
    .vgpr_count:     245
    .vgpr_spill_count: 0
    .wavefront_size: 64
amdhsa.target:   amdgcn-amd-amdhsa--gfx906
amdhsa.version:
  - 1
  - 2
...

	.end_amdgpu_metadata
